;; amdgpu-corpus repo=ROCm/aiter kind=harvested arch=n/a opt=n/a

/root/src/amdgpu-assembly/repos/ROCm__aiter/hsa/gfx942/pa/pa_bf16_pertokenFp8_gqa16_1tg_4w_qlen64_msk1_ps.co:	file format elf64-amdgpu

Disassembly of section .text:

0000000000002800 <_ZN5aiter42PA_A16W8_BLK1024_1TG_4W_64mx1_64nx4_MTP_PSE>:
	s_and_b32 s1, s1, 0xffff                                   // 000000002800: 8601FF01 0000FFFF
	s_load_dwordx2 s[4:5], s[0:1], 0x0                         // 000000002808: C0060100 00000000
	s_load_dwordx2 s[8:9], s[0:1], 0x10                        // 000000002810: C0060200 00000010
	s_load_dwordx2 s[12:13], s[0:1], 0x20                      // 000000002818: C0060300 00000020
	s_load_dwordx2 s[16:17], s[0:1], 0x30                      // 000000002820: C0060400 00000030
	s_load_dwordx2 s[42:43], s[0:1], 0x40                      // 000000002828: C0060A80 00000040
	s_load_dwordx2 s[40:41], s[0:1], 0x50                      // 000000002830: C0060A00 00000050
	s_load_dwordx2 s[20:21], s[0:1], 0x60                      // 000000002838: C0060500 00000060
	s_load_dwordx2 s[24:25], s[0:1], 0x70                      // 000000002840: C0060600 00000070
	s_load_dword s46, s[0:1], 0x80                             // 000000002848: C0020B80 00000080
	s_load_dword s48, s[0:1], 0x90                             // 000000002850: C0020C00 00000090
	s_load_dword s49, s[0:1], 0xa0                             // 000000002858: C0020C40 000000A0
	s_load_dword s50, s[0:1], 0xb0                             // 000000002860: C0020C80 000000B0
	s_load_dword s51, s[0:1], 0xc0                             // 000000002868: C0020CC0 000000C0
	s_load_dword s52, s[0:1], 0xd0                             // 000000002870: C0020D00 000000D0
	s_load_dword s53, s[0:1], 0xe0                             // 000000002878: C0020D40 000000E0
	s_load_dwordx2 s[44:45], s[0:1], 0x100                     // 000000002880: C0060B00 00000100
	s_load_dwordx2 s[36:37], s[0:1], 0x110                     // 000000002888: C0060900 00000110
	s_load_dwordx2 s[38:39], s[0:1], 0x120                     // 000000002890: C0060980 00000120
	s_load_dwordx2 s[28:29], s[0:1], 0x130                     // 000000002898: C0060700 00000130
	s_load_dwordx2 s[32:33], s[0:1], 0x140                     // 0000000028A0: C0060800 00000140
	s_load_dword s100, s[0:1], 0x150                           // 0000000028A8: C0021900 00000150
	s_load_dword s66, s[0:1], 0x160                            // 0000000028B0: C0021080 00000160
	v_lshrrev_b32_e32 v1, 10, v0                               // 0000000028B8: 2002008A
	v_lshrrev_b32_e32 v2, 10, v1                               // 0000000028BC: 2004028A
	v_and_b32_e32 v2, 0x3ff, v2                                // 0000000028C0: 260404FF 000003FF
	v_and_b32_e32 v1, 0x3ff, v1                                // 0000000028C8: 260202FF 000003FF
	v_and_b32_e32 v0, 0x3ff, v0                                // 0000000028D0: 260000FF 000003FF
	v_lshrrev_b32_e32 v3, 6, v0                                // 0000000028D8: 20060086
	v_and_b32_e32 v0, 63, v0                                   // 0000000028DC: 260000BF
	s_mov_b32 s58, s2                                          // 0000000028E0: BEBA0002
	v_readfirstlane_b32 s57, v3                                // 0000000028E4: 7E720503
	s_mov_b32 s56, 0x7060302                                   // 0000000028E8: BEB800FF 07060302
	v_mov_b32_e32 v208, 0xffff0000                             // 0000000028F0: 7FA002FF FFFF0000
	v_mov_b32_e32 v209, 0x7fff0000                             // 0000000028F8: 7FA202FF 7FFF0000
	v_mov_b32_e32 v210, 0x7fff                                 // 000000002900: 7FA402FF 00007FFF
	v_mov_b32_e32 v216, 0xff800000                             // 000000002908: 7FB002FF FF800000
	v_lshrrev_b32_e32 v196, 4, v0                              // 000000002910: 21880084
	v_and_b32_e32 v197, 15, v0                                 // 000000002914: 278A008F
	v_add_u32_e32 v198, 1, v196                                // 000000002918: 698D8881
	v_and_b32_e32 v200, 3, v198                                // 00000000291C: 27918C83
	v_lshlrev_b32_e32 v200, 4, v200                            // 000000002920: 25919084
	v_add_u32_e32 v200, v197, v200                             // 000000002924: 699191C5
	v_lshlrev_b32_e32 v200, 2, v200                            // 000000002928: 25919082
	v_add_u32_e32 v198, 2, v196                                // 00000000292C: 698D8882
	v_and_b32_e32 v201, 3, v198                                // 000000002930: 27938C83
	v_lshlrev_b32_e32 v201, 4, v201                            // 000000002934: 25939284
	v_add_u32_e32 v201, v197, v201                             // 000000002938: 699393C5
	v_lshlrev_b32_e32 v201, 2, v201                            // 00000000293C: 25939282
	v_add_u32_e32 v198, 3, v196                                // 000000002940: 698D8883
	v_and_b32_e32 v202, 3, v198                                // 000000002944: 27958C83
	v_lshlrev_b32_e32 v202, 4, v202                            // 000000002948: 25959484
	v_add_u32_e32 v202, v197, v202                             // 00000000294C: 699595C5
	v_lshlrev_b32_e32 v202, 2, v202                            // 000000002950: 25959482
	s_waitcnt lgkmcnt(0)                                       // 000000002954: BF8CC07F
	s_lshl_b32 s54, s58, 2                                     // 000000002958: 8E36823A
	s_and_b32 s37, s37, 0xffff                                 // 00000000295C: 8625FF25 0000FFFF
	s_load_dwordx2 s[80:81], s[36:37], s54                     // 000000002964: C0041412 00000036
	s_mul_i32 s54, s53, 0x100                                  // 00000000296C: 9236FF35 00000100
	s_mul_i32 s67, s48, s54                                    // 000000002974: 92433630
	s_mov_b32 s47, s46                                         // 000000002978: BEAF002E
	s_mov_b32 s10, 0x80000000                                  // 00000000297C: BE8A00FF 80000000
	s_mov_b32 s11, 0x20000                                     // 000000002984: BE8B00FF 00020000
	s_and_b32 s9, s9, 0xffff                                   // 00000000298C: 8609FF09 0000FFFF
	s_or_b32 s9, s9, 0                                         // 000000002994: 87098009
	s_mov_b32 s84, s8                                          // 000000002998: BED40008
	s_mov_b32 s85, s9                                          // 00000000299C: BED50009
	s_mov_b32 s6, 0x80000000                                   // 0000000029A0: BE8600FF 80000000
	s_mov_b32 s7, 0x20000                                      // 0000000029A8: BE8700FF 00020000
	s_and_b32 s5, s5, 0xffff                                   // 0000000029B0: 8605FF05 0000FFFF
	s_or_b32 s5, s5, 0                                         // 0000000029B8: 87058005
	s_mov_b32 s82, s4                                          // 0000000029BC: BED20004
	s_mov_b32 s83, s5                                          // 0000000029C0: BED30005
	s_mov_b32 s30, 0x80000000                                  // 0000000029C4: BE9E00FF 80000000
	s_mov_b32 s31, 0x20000                                     // 0000000029CC: BE9F00FF 00020000
	s_and_b32 s29, s29, 0xffff                                 // 0000000029D4: 861DFF1D 0000FFFF
	s_or_b32 s29, s29, 0                                       // 0000000029DC: 871D801D
	s_mov_b32 s94, s28                                         // 0000000029E0: BEDE001C
	s_mov_b32 s95, s29                                         // 0000000029E4: BEDF001D
	s_mov_b32 s34, 0x80000000                                  // 0000000029E8: BEA200FF 80000000
	s_mov_b32 s35, 0x20000                                     // 0000000029F0: BEA300FF 00020000
	s_and_b32 s33, s33, 0xffff                                 // 0000000029F8: 8621FF21 0000FFFF
	s_or_b32 s33, s33, 0                                       // 000000002A00: 87218021
	s_mov_b32 s96, s32                                         // 000000002A04: BEE00020
	s_mov_b32 s97, s33                                         // 000000002A08: BEE10021
	s_mov_b32 s14, 0x80000000                                  // 000000002A0C: BE8E00FF 80000000
	s_mov_b32 s15, 0x20000                                     // 000000002A14: BE8F00FF 00020000
	s_and_b32 s13, s13, 0xffff                                 // 000000002A1C: 860DFF0D 0000FFFF
	s_or_b32 s13, s13, 0                                       // 000000002A24: 870D800D
	s_mul_i32 s55, s57, 0x100                                  // 000000002A28: 9237FF39 00000100
	s_add_u32 s86, s12, s55                                    // 000000002A30: 8056370C
	s_addc_u32 s87, s13, 0                                     // 000000002A34: 8257800D
	s_mov_b32 s18, 0x80000000                                  // 000000002A38: BE9200FF 80000000
	s_mov_b32 s19, 0x20000                                     // 000000002A40: BE9300FF 00020000
	s_and_b32 s17, s17, 0xffff                                 // 000000002A48: 8611FF11 0000FFFF
	s_or_b32 s17, s17, 0                                       // 000000002A50: 87118011
	s_add_u32 s88, s16, s55                                    // 000000002A54: 80583710
	s_addc_u32 s89, s17, 0                                     // 000000002A58: 82598011
	s_mov_b32 s22, 0x80000000                                  // 000000002A5C: BE9600FF 80000000
	s_mov_b32 s23, 0x20000                                     // 000000002A64: BE9700FF 00020000
	s_and_b32 s21, s21, 0xffff                                 // 000000002A6C: 8615FF15 0000FFFF
	s_or_b32 s21, s21, 0                                       // 000000002A74: 87158015
	s_mul_i32 s55, s57, 64                                     // 000000002A78: 9237C039
	s_add_u32 s90, s20, s55                                    // 000000002A7C: 805A3714
	s_addc_u32 s91, s21, 0                                     // 000000002A80: 825B8015
	s_mov_b32 s26, 0x80000000                                  // 000000002A84: BE9A00FF 80000000
	s_mov_b32 s27, 0x20000                                     // 000000002A8C: BE9B00FF 00020000
	s_and_b32 s25, s25, 0xffff                                 // 000000002A94: 8619FF19 0000FFFF
	s_or_b32 s25, s25, 0                                       // 000000002A9C: 87198019
	s_add_u32 s92, s24, s55                                    // 000000002AA0: 805C3718
	s_addc_u32 s93, s25, 0                                     // 000000002AA4: 825D8019
	s_and_b32 s39, s39, 0xffff                                 // 000000002AA8: 8627FF27 0000FFFF
	s_and_b32 s41, s41, 0xffff                                 // 000000002AB0: 8629FF29 0000FFFF
	s_and_b32 s43, s43, 0xffff                                 // 000000002AB8: 862BFF2B 0000FFFF
	s_and_b32 s45, s45, 0xffff                                 // 000000002AC0: 862DFF2D 0000FFFF
	v_and_b32_e32 v188, 15, v0                                 // 000000002AC8: 2778008F
	v_lshlrev_b32_e32 v188, 4, v188                            // 000000002ACC: 25797884
	s_lshl_b32 s54, s57, 2                                     // 000000002AD0: 8E368239
	v_lshrrev_b32_e32 v180, 4, v0                              // 000000002AD4: 21680084
	v_add_u32_e32 v180, s54, v180                              // 000000002AD8: 69696836
	v_add_u32_e32 v181, 16, v180                               // 000000002ADC: 696B6890
	v_add_u32_e32 v182, 16, v181                               // 000000002AE0: 696D6A90
	v_add_u32_e32 v183, 16, v182                               // 000000002AE4: 696F6C90
	v_cvt_f32_u32_e32 v196, s53                                // 000000002AE8: 7F880C35
	v_sub_i32 v184, 0, s53                                     // 000000002AEC: D29D00B8 00006A80
	v_rcp_iflag_f32_e32 v196, v196                             // 000000002AF4: 7F8847C4
	s_nop 0                                                    // 000000002AF8: BF800000
	v_mul_f32_e32 v196, 0x4f7ffffe, v196                       // 000000002AFC: 0B8988FF 4F7FFFFE
	v_cvt_u32_f32_e32 v196, v196                               // 000000002B04: 7F880FC4
	v_mul_lo_u32 v197, v184, v196                              // 000000002B08: D28500C5 000389B8
	v_mul_hi_u32 v197, v196, v197                              // 000000002B10: D28600C5 00038BC4
	v_add_u32_e32 v196, v196, v197                             // 000000002B18: 69898BC4
	v_mul_hi_u32 v196, v180, v196                              // 000000002B1C: D28600C4 000389B4
	v_mul_lo_u32 v197, v196, s53                               // 000000002B24: D28500C5 00006BC4
	v_sub_u32_e32 v199, v180, v197                             // 000000002B2C: 6B8F8BB4
	v_add_u32_e32 v198, 1, v196                                // 000000002B30: 698D8881
	v_cmp_le_u32_e32 vcc, s53, v199                            // 000000002B34: 7D978E35
	v_subrev_u32_e32 v197, s53, v199                           // 000000002B38: 6D8B8E35
	s_nop 0                                                    // 000000002B3C: BF800000
	v_cndmask_b32_e32 v196, v196, v198, vcc                    // 000000002B40: 01898DC4
	v_cndmask_b32_e32 v199, v199, v197, vcc                    // 000000002B44: 018F8BC7
	v_add_u32_e32 v197, 1, v196                                // 000000002B48: 698B8881
	v_cmp_le_u32_e32 vcc, s53, v199                            // 000000002B4C: 7D978E35
	s_nop 1                                                    // 000000002B50: BF800001
	v_cndmask_b32_e32 v184, v196, v197, vcc                    // 000000002B54: 01718BC4
	v_mul_i32_i24_e32 v198, s53, v184                          // 000000002B58: 0D8D7035
	v_sub_u32_e32 v198, v180, v198                             // 000000002B5C: 6B8D8DB4
	v_mul_u32_u24_e32 v198, 0x100, v198                        // 000000002B60: 118D8CFF 00000100
	v_mul_u32_u24_e32 v217, s49, v184                          // 000000002B68: 11B37031
	v_add3_u32 v217, v198, v217, v188                          // 000000002B6C: D1FF00D9 06F3B3C6
	v_mul_u32_u24_e32 v221, s67, v184                          // 000000002B74: 11BB7043
	v_add3_u32 v221, v198, v221, v188                          // 000000002B78: D1FF00DD 06F3BBC6
	v_cvt_f32_u32_e32 v196, s53                                // 000000002B80: 7F880C35
	v_sub_i32 v184, 0, s53                                     // 000000002B84: D29D00B8 00006A80
	v_rcp_iflag_f32_e32 v196, v196                             // 000000002B8C: 7F8847C4
	s_nop 0                                                    // 000000002B90: BF800000
	v_mul_f32_e32 v196, 0x4f7ffffe, v196                       // 000000002B94: 0B8988FF 4F7FFFFE
	v_cvt_u32_f32_e32 v196, v196                               // 000000002B9C: 7F880FC4
	v_mul_lo_u32 v197, v184, v196                              // 000000002BA0: D28500C5 000389B8
	v_mul_hi_u32 v197, v196, v197                              // 000000002BA8: D28600C5 00038BC4
	v_add_u32_e32 v196, v196, v197                             // 000000002BB0: 69898BC4
	v_mul_hi_u32 v196, v181, v196                              // 000000002BB4: D28600C4 000389B5
	v_mul_lo_u32 v197, v196, s53                               // 000000002BBC: D28500C5 00006BC4
	v_sub_u32_e32 v199, v181, v197                             // 000000002BC4: 6B8F8BB5
	v_add_u32_e32 v198, 1, v196                                // 000000002BC8: 698D8881
	v_cmp_le_u32_e32 vcc, s53, v199                            // 000000002BCC: 7D978E35
	v_subrev_u32_e32 v197, s53, v199                           // 000000002BD0: 6D8B8E35
	s_nop 0                                                    // 000000002BD4: BF800000
	v_cndmask_b32_e32 v196, v196, v198, vcc                    // 000000002BD8: 01898DC4
	v_cndmask_b32_e32 v199, v199, v197, vcc                    // 000000002BDC: 018F8BC7
	v_add_u32_e32 v197, 1, v196                                // 000000002BE0: 698B8881
	v_cmp_le_u32_e32 vcc, s53, v199                            // 000000002BE4: 7D978E35
	s_nop 1                                                    // 000000002BE8: BF800001
	v_cndmask_b32_e32 v184, v196, v197, vcc                    // 000000002BEC: 01718BC4
	v_mul_i32_i24_e32 v198, s53, v184                          // 000000002BF0: 0D8D7035
	v_sub_u32_e32 v198, v181, v198                             // 000000002BF4: 6B8D8DB5
	v_mul_u32_u24_e32 v198, 0x100, v198                        // 000000002BF8: 118D8CFF 00000100
	v_mul_u32_u24_e32 v218, s49, v184                          // 000000002C00: 11B57031
	v_add3_u32 v218, v198, v218, v188                          // 000000002C04: D1FF00DA 06F3B5C6
	v_mul_u32_u24_e32 v222, s67, v184                          // 000000002C0C: 11BD7043
	v_add3_u32 v222, v198, v222, v188                          // 000000002C10: D1FF00DE 06F3BDC6
	v_cvt_f32_u32_e32 v196, s53                                // 000000002C18: 7F880C35
	v_sub_i32 v184, 0, s53                                     // 000000002C1C: D29D00B8 00006A80
	v_rcp_iflag_f32_e32 v196, v196                             // 000000002C24: 7F8847C4
	s_nop 0                                                    // 000000002C28: BF800000
	v_mul_f32_e32 v196, 0x4f7ffffe, v196                       // 000000002C2C: 0B8988FF 4F7FFFFE
	v_cvt_u32_f32_e32 v196, v196                               // 000000002C34: 7F880FC4
	v_mul_lo_u32 v197, v184, v196                              // 000000002C38: D28500C5 000389B8
	v_mul_hi_u32 v197, v196, v197                              // 000000002C40: D28600C5 00038BC4
	v_add_u32_e32 v196, v196, v197                             // 000000002C48: 69898BC4
	v_mul_hi_u32 v196, v182, v196                              // 000000002C4C: D28600C4 000389B6
	v_mul_lo_u32 v197, v196, s53                               // 000000002C54: D28500C5 00006BC4
	v_sub_u32_e32 v199, v182, v197                             // 000000002C5C: 6B8F8BB6
	v_add_u32_e32 v198, 1, v196                                // 000000002C60: 698D8881
	v_cmp_le_u32_e32 vcc, s53, v199                            // 000000002C64: 7D978E35
	v_subrev_u32_e32 v197, s53, v199                           // 000000002C68: 6D8B8E35
	s_nop 0                                                    // 000000002C6C: BF800000
	v_cndmask_b32_e32 v196, v196, v198, vcc                    // 000000002C70: 01898DC4
	v_cndmask_b32_e32 v199, v199, v197, vcc                    // 000000002C74: 018F8BC7
	v_add_u32_e32 v197, 1, v196                                // 000000002C78: 698B8881
	v_cmp_le_u32_e32 vcc, s53, v199                            // 000000002C7C: 7D978E35
	s_nop 1                                                    // 000000002C80: BF800001
	v_cndmask_b32_e32 v184, v196, v197, vcc                    // 000000002C84: 01718BC4
	v_mul_i32_i24_e32 v198, s53, v184                          // 000000002C88: 0D8D7035
	v_sub_u32_e32 v198, v182, v198                             // 000000002C8C: 6B8D8DB6
	v_mul_u32_u24_e32 v198, 0x100, v198                        // 000000002C90: 118D8CFF 00000100
	v_mul_u32_u24_e32 v219, s49, v184                          // 000000002C98: 11B77031
	v_add3_u32 v219, v198, v219, v188                          // 000000002C9C: D1FF00DB 06F3B7C6
	v_mul_u32_u24_e32 v223, s67, v184                          // 000000002CA4: 11BF7043
	v_add3_u32 v223, v198, v223, v188                          // 000000002CA8: D1FF00DF 06F3BFC6
	v_cvt_f32_u32_e32 v196, s53                                // 000000002CB0: 7F880C35
	v_sub_i32 v184, 0, s53                                     // 000000002CB4: D29D00B8 00006A80
	v_rcp_iflag_f32_e32 v196, v196                             // 000000002CBC: 7F8847C4
	s_nop 0                                                    // 000000002CC0: BF800000
	v_mul_f32_e32 v196, 0x4f7ffffe, v196                       // 000000002CC4: 0B8988FF 4F7FFFFE
	v_cvt_u32_f32_e32 v196, v196                               // 000000002CCC: 7F880FC4
	v_mul_lo_u32 v197, v184, v196                              // 000000002CD0: D28500C5 000389B8
	v_mul_hi_u32 v197, v196, v197                              // 000000002CD8: D28600C5 00038BC4
	v_add_u32_e32 v196, v196, v197                             // 000000002CE0: 69898BC4
	v_mul_hi_u32 v196, v183, v196                              // 000000002CE4: D28600C4 000389B7
	v_mul_lo_u32 v197, v196, s53                               // 000000002CEC: D28500C5 00006BC4
	v_sub_u32_e32 v199, v183, v197                             // 000000002CF4: 6B8F8BB7
	v_add_u32_e32 v198, 1, v196                                // 000000002CF8: 698D8881
	v_cmp_le_u32_e32 vcc, s53, v199                            // 000000002CFC: 7D978E35
	v_subrev_u32_e32 v197, s53, v199                           // 000000002D00: 6D8B8E35
	s_nop 0                                                    // 000000002D04: BF800000
	v_cndmask_b32_e32 v196, v196, v198, vcc                    // 000000002D08: 01898DC4
	v_cndmask_b32_e32 v199, v199, v197, vcc                    // 000000002D0C: 018F8BC7
	v_add_u32_e32 v197, 1, v196                                // 000000002D10: 698B8881
	v_cmp_le_u32_e32 vcc, s53, v199                            // 000000002D14: 7D978E35
	s_nop 1                                                    // 000000002D18: BF800001
	v_cndmask_b32_e32 v184, v196, v197, vcc                    // 000000002D1C: 01718BC4
	v_mul_i32_i24_e32 v198, s53, v184                          // 000000002D20: 0D8D7035
	v_sub_u32_e32 v198, v183, v198                             // 000000002D24: 6B8D8DB7
	v_mul_u32_u24_e32 v198, 0x100, v198                        // 000000002D28: 118D8CFF 00000100
	v_mul_u32_u24_e32 v220, s49, v184                          // 000000002D30: 11B97031
	v_add3_u32 v220, v198, v220, v188                          // 000000002D34: D1FF00DC 06F3B9C6
	v_mul_u32_u24_e32 v224, s67, v184                          // 000000002D3C: 11C17043
	v_add3_u32 v224, v198, v224, v188                          // 000000002D40: D1FF00E0 06F3C1C6
	s_lshl_b32 s54, s57, 6                                     // 000000002D48: 8E368639
	v_lshrrev_b32_e32 v188, 4, v0                              // 000000002D4C: 21780084
	v_lshlrev_b32_e32 v188, 4, v188                            // 000000002D50: 25797884
	v_add_u32_e32 v188, s54, v188                              // 000000002D54: 69797836
	v_and_b32_e32 v180, 15, v0                                 // 000000002D58: 2768008F
	v_add_u32_e64 v181, v180, 16                               // 000000002D5C: D13400B5 000121B4
	v_add_u32_e64 v182, v180, 32                               // 000000002D64: D13400B6 000141B4
	v_add_u32_e64 v183, v180, 48                               // 000000002D6C: D13400B7 000161B4
	s_mul_i32 s54, s48, s53                                    // 000000002D74: 92363530
	s_lshl_b32 s54, s54, 2                                     // 000000002D78: 8E368236
	s_mul_i32 s55, s54, 0x80                                   // 000000002D7C: 9237FF36 00000080
	v_cvt_f32_u32_e32 v196, s53                                // 000000002D84: 7F880C35
	v_sub_i32 v184, 0, s53                                     // 000000002D88: D29D00B8 00006A80
	v_rcp_iflag_f32_e32 v196, v196                             // 000000002D90: 7F8847C4
	s_nop 0                                                    // 000000002D94: BF800000
	v_mul_f32_e32 v196, 0x4f7ffffe, v196                       // 000000002D98: 0B8988FF 4F7FFFFE
	v_cvt_u32_f32_e32 v196, v196                               // 000000002DA0: 7F880FC4
	v_mul_lo_u32 v197, v184, v196                              // 000000002DA4: D28500C5 000389B8
	v_mul_hi_u32 v197, v196, v197                              // 000000002DAC: D28600C5 00038BC4
	v_add_u32_e32 v196, v196, v197                             // 000000002DB4: 69898BC4
	v_mul_hi_u32 v196, v180, v196                              // 000000002DB8: D28600C4 000389B4
	v_mul_lo_u32 v197, v196, s53                               // 000000002DC0: D28500C5 00006BC4
	v_sub_u32_e32 v199, v180, v197                             // 000000002DC8: 6B8F8BB4
	v_add_u32_e32 v198, 1, v196                                // 000000002DCC: 698D8881
	v_cmp_le_u32_e32 vcc, s53, v199                            // 000000002DD0: 7D978E35
	v_subrev_u32_e32 v197, s53, v199                           // 000000002DD4: 6D8B8E35
	s_nop 0                                                    // 000000002DD8: BF800000
	v_cndmask_b32_e32 v196, v196, v198, vcc                    // 000000002DDC: 01898DC4
	v_cndmask_b32_e32 v199, v199, v197, vcc                    // 000000002DE0: 018F8BC7
	v_add_u32_e32 v197, 1, v196                                // 000000002DE4: 698B8881
	v_cmp_le_u32_e32 vcc, s53, v199                            // 000000002DE8: 7D978E35
	s_nop 1                                                    // 000000002DEC: BF800001
	v_cndmask_b32_e32 v184, v196, v197, vcc                    // 000000002DF0: 01718BC4
	v_mul_i32_i24_e32 v198, s53, v184                          // 000000002DF4: 0D8D7035
	v_sub_u32_e32 v198, v180, v198                             // 000000002DF8: 6B8D8DB4
	v_lshlrev_b32_e32 v199, 2, v198                            // 000000002DFC: 258F8C82
	v_mul_u32_u24_e32 v233, s54, v184                          // 000000002E00: 11D37036
	v_add_u32_e32 v233, v199, v233                             // 000000002E04: 69D3D3C7
	v_mul_u32_u24_e32 v199, 0x200, v198                        // 000000002E08: 118F8CFF 00000200
	v_mul_u32_u24_e32 v237, s55, v184                          // 000000002E10: 11DB7037
	v_add3_u32 v237, v199, v237, v188                          // 000000002E14: D1FF00ED 06F3DBC7
	v_cvt_f32_u32_e32 v196, s53                                // 000000002E1C: 7F880C35
	v_sub_i32 v184, 0, s53                                     // 000000002E20: D29D00B8 00006A80
	v_rcp_iflag_f32_e32 v196, v196                             // 000000002E28: 7F8847C4
	s_nop 0                                                    // 000000002E2C: BF800000
	v_mul_f32_e32 v196, 0x4f7ffffe, v196                       // 000000002E30: 0B8988FF 4F7FFFFE
	v_cvt_u32_f32_e32 v196, v196                               // 000000002E38: 7F880FC4
	v_mul_lo_u32 v197, v184, v196                              // 000000002E3C: D28500C5 000389B8
	v_mul_hi_u32 v197, v196, v197                              // 000000002E44: D28600C5 00038BC4
	v_add_u32_e32 v196, v196, v197                             // 000000002E4C: 69898BC4
	v_mul_hi_u32 v196, v181, v196                              // 000000002E50: D28600C4 000389B5
	v_mul_lo_u32 v197, v196, s53                               // 000000002E58: D28500C5 00006BC4
	v_sub_u32_e32 v199, v181, v197                             // 000000002E60: 6B8F8BB5
	v_add_u32_e32 v198, 1, v196                                // 000000002E64: 698D8881
	v_cmp_le_u32_e32 vcc, s53, v199                            // 000000002E68: 7D978E35
	v_subrev_u32_e32 v197, s53, v199                           // 000000002E6C: 6D8B8E35
	s_nop 0                                                    // 000000002E70: BF800000
	v_cndmask_b32_e32 v196, v196, v198, vcc                    // 000000002E74: 01898DC4
	v_cndmask_b32_e32 v199, v199, v197, vcc                    // 000000002E78: 018F8BC7
	v_add_u32_e32 v197, 1, v196                                // 000000002E7C: 698B8881
	v_cmp_le_u32_e32 vcc, s53, v199                            // 000000002E80: 7D978E35
	s_nop 1                                                    // 000000002E84: BF800001
	v_cndmask_b32_e32 v184, v196, v197, vcc                    // 000000002E88: 01718BC4
	v_mul_i32_i24_e32 v198, s53, v184                          // 000000002E8C: 0D8D7035
	v_sub_u32_e32 v198, v181, v198                             // 000000002E90: 6B8D8DB5
	v_lshlrev_b32_e32 v199, 2, v198                            // 000000002E94: 258F8C82
	v_mul_u32_u24_e32 v234, s54, v184                          // 000000002E98: 11D57036
	v_add_u32_e32 v234, v199, v234                             // 000000002E9C: 69D5D5C7
	v_mul_u32_u24_e32 v199, 0x200, v198                        // 000000002EA0: 118F8CFF 00000200
	v_mul_u32_u24_e32 v238, s55, v184                          // 000000002EA8: 11DD7037
	v_add3_u32 v238, v199, v238, v188                          // 000000002EAC: D1FF00EE 06F3DDC7
	v_cvt_f32_u32_e32 v196, s53                                // 000000002EB4: 7F880C35
	v_sub_i32 v184, 0, s53                                     // 000000002EB8: D29D00B8 00006A80
	v_rcp_iflag_f32_e32 v196, v196                             // 000000002EC0: 7F8847C4
	s_nop 0                                                    // 000000002EC4: BF800000
	v_mul_f32_e32 v196, 0x4f7ffffe, v196                       // 000000002EC8: 0B8988FF 4F7FFFFE
	v_cvt_u32_f32_e32 v196, v196                               // 000000002ED0: 7F880FC4
	v_mul_lo_u32 v197, v184, v196                              // 000000002ED4: D28500C5 000389B8
	v_mul_hi_u32 v197, v196, v197                              // 000000002EDC: D28600C5 00038BC4
	v_add_u32_e32 v196, v196, v197                             // 000000002EE4: 69898BC4
	v_mul_hi_u32 v196, v182, v196                              // 000000002EE8: D28600C4 000389B6
	v_mul_lo_u32 v197, v196, s53                               // 000000002EF0: D28500C5 00006BC4
	v_sub_u32_e32 v199, v182, v197                             // 000000002EF8: 6B8F8BB6
	v_add_u32_e32 v198, 1, v196                                // 000000002EFC: 698D8881
	v_cmp_le_u32_e32 vcc, s53, v199                            // 000000002F00: 7D978E35
	v_subrev_u32_e32 v197, s53, v199                           // 000000002F04: 6D8B8E35
	s_nop 0                                                    // 000000002F08: BF800000
	v_cndmask_b32_e32 v196, v196, v198, vcc                    // 000000002F0C: 01898DC4
	v_cndmask_b32_e32 v199, v199, v197, vcc                    // 000000002F10: 018F8BC7
	v_add_u32_e32 v197, 1, v196                                // 000000002F14: 698B8881
	v_cmp_le_u32_e32 vcc, s53, v199                            // 000000002F18: 7D978E35
	s_nop 1                                                    // 000000002F1C: BF800001
	v_cndmask_b32_e32 v184, v196, v197, vcc                    // 000000002F20: 01718BC4
	v_mul_i32_i24_e32 v198, s53, v184                          // 000000002F24: 0D8D7035
	v_sub_u32_e32 v198, v182, v198                             // 000000002F28: 6B8D8DB6
	v_lshlrev_b32_e32 v199, 2, v198                            // 000000002F2C: 258F8C82
	v_mul_u32_u24_e32 v235, s54, v184                          // 000000002F30: 11D77036
	v_add_u32_e32 v235, v199, v235                             // 000000002F34: 69D7D7C7
	v_mul_u32_u24_e32 v199, 0x200, v198                        // 000000002F38: 118F8CFF 00000200
	v_mul_u32_u24_e32 v239, s55, v184                          // 000000002F40: 11DF7037
	v_add3_u32 v239, v199, v239, v188                          // 000000002F44: D1FF00EF 06F3DFC7
	v_cvt_f32_u32_e32 v196, s53                                // 000000002F4C: 7F880C35
	v_sub_i32 v184, 0, s53                                     // 000000002F50: D29D00B8 00006A80
	v_rcp_iflag_f32_e32 v196, v196                             // 000000002F58: 7F8847C4
	s_nop 0                                                    // 000000002F5C: BF800000
	v_mul_f32_e32 v196, 0x4f7ffffe, v196                       // 000000002F60: 0B8988FF 4F7FFFFE
	v_cvt_u32_f32_e32 v196, v196                               // 000000002F68: 7F880FC4
	v_mul_lo_u32 v197, v184, v196                              // 000000002F6C: D28500C5 000389B8
	v_mul_hi_u32 v197, v196, v197                              // 000000002F74: D28600C5 00038BC4
	v_add_u32_e32 v196, v196, v197                             // 000000002F7C: 69898BC4
	v_mul_hi_u32 v196, v183, v196                              // 000000002F80: D28600C4 000389B7
	v_mul_lo_u32 v197, v196, s53                               // 000000002F88: D28500C5 00006BC4
	v_sub_u32_e32 v199, v183, v197                             // 000000002F90: 6B8F8BB7
	v_add_u32_e32 v198, 1, v196                                // 000000002F94: 698D8881
	v_cmp_le_u32_e32 vcc, s53, v199                            // 000000002F98: 7D978E35
	v_subrev_u32_e32 v197, s53, v199                           // 000000002F9C: 6D8B8E35
	s_nop 0                                                    // 000000002FA0: BF800000
	v_cndmask_b32_e32 v196, v196, v198, vcc                    // 000000002FA4: 01898DC4
	v_cndmask_b32_e32 v199, v199, v197, vcc                    // 000000002FA8: 018F8BC7
	v_add_u32_e32 v197, 1, v196                                // 000000002FAC: 698B8881
	v_cmp_le_u32_e32 vcc, s53, v199                            // 000000002FB0: 7D978E35
	s_nop 1                                                    // 000000002FB4: BF800001
	v_cndmask_b32_e32 v184, v196, v197, vcc                    // 000000002FB8: 01718BC4
	v_mul_i32_i24_e32 v198, s53, v184                          // 000000002FBC: 0D8D7035
	v_sub_u32_e32 v198, v183, v198                             // 000000002FC0: 6B8D8DB7
	v_lshlrev_b32_e32 v199, 2, v198                            // 000000002FC4: 258F8C82
	v_mul_u32_u24_e32 v236, s54, v184                          // 000000002FC8: 11D97036
	v_add_u32_e32 v236, v199, v236                             // 000000002FCC: 69D9D9C7
	v_mul_u32_u24_e32 v199, 0x200, v198                        // 000000002FD0: 118F8CFF 00000200
	v_mul_u32_u24_e32 v240, s55, v184                          // 000000002FD8: 11E17037
	v_add3_u32 v240, v199, v240, v188                          // 000000002FDC: D1FF00F0 06F3E1C7
	s_mul_i32 s54, s57, 64                                     // 000000002FE4: 9236C039
	v_and_b32_e32 v196, 15, v0                                 // 000000002FE8: 2788008F
	v_mul_i32_i24_e32 v196, 0x100, v196                        // 000000002FEC: 0D8988FF 00000100
	v_lshrrev_b32_e32 v197, 4, v0                              // 000000002FF4: 218A0084
	v_mul_i32_i24_e32 v197, 16, v197                           // 000000002FF8: 0D8B8A90
	v_add3_u32 v241, v196, v197, s54                           // 000000002FFC: D1FF00F1 00DB8BC4
	v_and_b32_e32 v243, 15, v0                                 // 000000003004: 27E6008F
	v_mul_i32_i24_e32 v243, 16, v243                           // 000000003008: 0DE7E690
	s_mul_i32 s54, s57, 0x240                                  // 00000000300C: 9236FF39 00000240
	v_lshrrev_b32_e32 v196, 4, v0                              // 000000003014: 21880084
	v_lshlrev_b32_e32 v196, 7, v196                            // 000000003018: 25898887
	v_lshrrev_b32_e32 v197, 5, v0                              // 00000000301C: 218A0085
	v_lshlrev_b32_e32 v197, 5, v197                            // 000000003020: 258B8A85
	v_and_b32_e32 v198, 15, v0                                 // 000000003024: 278C008F
	v_lshlrev_b32_e32 v198, 3, v198                            // 000000003028: 258D8C83
	v_add3_u32 v196, v196, v197, v198                          // 00000000302C: D1FF00C4 071B8BC4
	v_add_u32_e32 v242, s54, v196                              // 000000003034: 69E58836
	v_and_b32_e32 v196, 15, v0                                 // 000000003038: 2788008F
	v_lshlrev_b32_e32 v197, 7, v196                            // 00000000303C: 258B8887
	v_lshrrev_b32_e32 v196, 1, v196                            // 000000003040: 21898881
	v_lshlrev_b32_e32 v196, 5, v196                            // 000000003044: 25898885
	v_lshrrev_b32_e32 v198, 4, v0                              // 000000003048: 218C0084
	v_lshlrev_b32_e32 v198, 4, v198                            // 00000000304C: 258D8C84
	v_add3_u32 v244, v196, v197, v198                          // 000000003050: D1FF00F4 071B8BC4
	s_mul_i32 s54, s57, 0x240                                  // 000000003058: 9236FF39 00000240
	v_lshrrev_b32_e32 v196, 5, v0                              // 000000003060: 21880085
	v_mul_i32_i24_e32 v196, 0x120, v196                        // 000000003064: 0D8988FF 00000120
	v_lshrrev_b32_e32 v197, 4, v0                              // 00000000306C: 218A0084
	v_and_b32_e32 v197, 1, v197                                // 000000003070: 278B8A81
	v_lshlrev_b32_e32 v197, 3, v197                            // 000000003074: 258B8A83
	v_and_b32_e32 v198, 15, v0                                 // 000000003078: 278C008F
	v_lshlrev_b32_e32 v198, 4, v198                            // 00000000307C: 258D8C84
	v_add3_u32 v245, v196, v197, v198                          // 000000003080: D1FF00F5 071B8BC4
	v_add_u32_e32 v245, s54, v245                              // 000000003088: 69EBEA36
	s_lshl_b32 s54, s57, 6                                     // 00000000308C: 8E368639
	v_lshrrev_b32_e32 v196, 4, v0                              // 000000003090: 21880084
	v_lshlrev_b32_e32 v196, 4, v196                            // 000000003094: 25898884
	v_and_b32_e32 v197, 15, v0                                 // 000000003098: 278A008F
	v_mul_i32_i24_e32 v197, 0x120, v197                        // 00000000309C: 0D8B8AFF 00000120
	v_add3_u32 v246, v196, v197, s54                           // 0000000030A4: D1FF00F6 00DB8BC4
	v_lshrrev_b32_e32 v196, 4, v0                              // 0000000030AC: 21880084
	v_and_b32_e32 v197, 15, v0                                 // 0000000030B0: 278A008F
	v_lshlrev_b32_e32 v198, 4, v197                            // 0000000030B4: 258D8A84
	v_mul_i32_i24_e32 v225, 0x4000, v196                       // 0000000030B8: 0DC388FF 00004000
	v_add_u32_e32 v225, v198, v225                             // 0000000030C0: 69C3C3C6
	v_add_u32_e32 v226, 0x10000, v225                          // 0000000030C4: 69C5C2FF 00010000
	v_mul_i32_i24_e32 v227, 0x800, v196                        // 0000000030CC: 0DC788FF 00000800
	v_add_u32_e32 v227, v198, v227                             // 0000000030D4: 69C7C7C6
	v_add_u32_e32 v228, 0x2000, v227                           // 0000000030D8: 69C9C6FF 00002000
	v_add_u32_e32 v229, 0x2000, v228                           // 0000000030E0: 69CBC8FF 00002000
	v_add_u32_e32 v230, 0x2000, v229                           // 0000000030E8: 69CDCAFF 00002000
	v_lshlrev_b32_e32 v196, 2, v196                            // 0000000030F0: 25898882
	v_lshrrev_b32_e32 v197, 2, v197                            // 0000000030F4: 218B8A82
	v_lshlrev_b32_e32 v197, 6, v197                            // 0000000030F8: 258B8A86
	v_and_b32_e32 v198, 3, v0                                  // 0000000030FC: 278C0083
	v_add3_u32 v196, v196, v197, v198                          // 000000003100: D1FF00C4 071B8BC4
	v_lshlrev_b32_e32 v231, 2, v196                            // 000000003108: 25CF8882
	v_mov_b32_e32 v232, v231                                   // 00000000310C: 7FD003E7
	s_lshl_b32 s54, s57, 4                                     // 000000003110: 8E368439
	v_lshrrev_b32_e32 v215, 4, v0                              // 000000003114: 21AE0084
	v_lshlrev_b32_e32 v215, 2, v215                            // 000000003118: 25AFAE82
	v_add_u32_e32 v215, s54, v215                              // 00000000311C: 69AFAE36
	s_lshl_b32 s54, s57, 6                                     // 000000003120: 8E368639
	v_lshrrev_b32_e32 v196, 4, v0                              // 000000003124: 21880084
	v_lshlrev_b32_e32 v196, 8, v196                            // 000000003128: 25898888
	v_and_b32_e32 v197, 15, v0                                 // 00000000312C: 278A008F
	v_lshlrev_b32_e32 v197, 2, v197                            // 000000003130: 258B8A82
	v_add3_u32 v247, s54, v196, v197                           // 000000003134: D1FF00F7 07178836
	v_lshlrev_b32_e32 v247, 2, v247                            // 00000000313C: 25EFEE82
	v_and_b32_e32 v248, 15, v0                                 // 000000003140: 27F0008F
	v_lshlrev_b32_e32 v248, 4, v248                            // 000000003144: 25F1F084
	s_lshl_b32 s54, s57, 8                                     // 000000003148: 8E368839
	v_and_b32_e32 v197, 15, v0                                 // 00000000314C: 278A008F
	v_lshlrev_b32_e32 v197, 4, v197                            // 000000003150: 258B8A84
	v_lshrrev_b32_e32 v198, 4, v0                              // 000000003154: 218C0084
	v_lshlrev_b32_e32 v198, 2, v198                            // 000000003158: 258D8C82
	v_add3_u32 v249, v197, v198, s54                           // 00000000315C: D1FF00F9 00DB8DC5
	v_and_b32_e32 v196, 15, v0                                 // 000000003164: 2788008F
	v_lshlrev_b32_e32 v196, 4, v196                            // 000000003168: 25898884
	v_lshrrev_b32_e32 v197, 4, v0                              // 00000000316C: 218A0084
	v_lshlrev_b32_e32 v197, 8, v197                            // 000000003170: 258B8A88
	v_add_u32_e32 v250, v196, v197                             // 000000003174: 69F58BC4
	s_waitcnt lgkmcnt(0)                                       // 000000003178: BF8CC07F

000000000000317c <label_025F>:
	s_cmp_lt_i32 s80, s81                                      // 00000000317C: BF045150
	s_cbranch_scc0 label_5BAF                                  // 000000003180: BF84594E
	s_lshl_b32 s54, s80, 5                                     // 000000003184: 8E368550
	s_load_dwordx8 s[72:79], s[38:39], s54                     // 000000003188: C00C1213 00000036
	v_mov_b32_e32 v152, 0xff7fffff                             // 000000003190: 7F3002FF FF7FFFFF
	v_mov_b64_e32 v[160:161], 0                                // 000000003198: 7F407080
	v_mov_b64_e32 v[168:169], 0                                // 00000000319C: 7F507080
	v_mov_b64_e32 v[144:145], 0                                // 0000000031A0: 7F207080
	v_mov_b32_e32 v153, 0xff7fffff                             // 0000000031A4: 7F3202FF FF7FFFFF
	v_mov_b64_e32 v[162:163], 0                                // 0000000031AC: 7F447080
	v_mov_b64_e32 v[170:171], 0                                // 0000000031B0: 7F547080
	v_mov_b64_e32 v[146:147], 0                                // 0000000031B4: 7F247080
	v_mov_b32_e32 v154, 0xff7fffff                             // 0000000031B8: 7F3402FF FF7FFFFF
	v_mov_b64_e32 v[164:165], 0                                // 0000000031C0: 7F487080
	v_mov_b64_e32 v[172:173], 0                                // 0000000031C4: 7F587080
	v_mov_b64_e32 v[148:149], 0                                // 0000000031C8: 7F287080
	v_mov_b32_e32 v155, 0xff7fffff                             // 0000000031CC: 7F3602FF FF7FFFFF
	v_mov_b64_e32 v[166:167], 0                                // 0000000031D4: 7F4C7080
	v_mov_b64_e32 v[174:175], 0                                // 0000000031D8: 7F5C7080
	v_mov_b64_e32 v[150:151], 0                                // 0000000031DC: 7F2C7080
	v_mov_b32_e32 v100, 0                                      // 0000000031E0: 7EC80280
	v_mov_b32_e32 v68, 0                                       // 0000000031E4: 7E880280
	v_mov_b32_e32 v101, 0                                      // 0000000031E8: 7ECA0280
	v_mov_b32_e32 v69, 0                                       // 0000000031EC: 7E8A0280
	v_mov_b32_e32 v102, 0                                      // 0000000031F0: 7ECC0280
	v_mov_b32_e32 v70, 0                                       // 0000000031F4: 7E8C0280
	v_mov_b32_e32 v103, 0                                      // 0000000031F8: 7ECE0280
	v_mov_b32_e32 v71, 0                                       // 0000000031FC: 7E8E0280
	v_mov_b32_e32 v104, 0                                      // 000000003200: 7ED00280
	v_mov_b32_e32 v72, 0                                       // 000000003204: 7E900280
	v_mov_b32_e32 v105, 0                                      // 000000003208: 7ED20280
	v_mov_b32_e32 v73, 0                                       // 00000000320C: 7E920280
	v_mov_b32_e32 v106, 0                                      // 000000003210: 7ED40280
	v_mov_b32_e32 v74, 0                                       // 000000003214: 7E940280
	v_mov_b32_e32 v107, 0                                      // 000000003218: 7ED60280
	v_mov_b32_e32 v75, 0                                       // 00000000321C: 7E960280
	v_mov_b32_e32 v108, 0                                      // 000000003220: 7ED80280
	v_mov_b32_e32 v76, 0                                       // 000000003224: 7E980280
	v_mov_b32_e32 v109, 0                                      // 000000003228: 7EDA0280
	v_mov_b32_e32 v77, 0                                       // 00000000322C: 7E9A0280
	v_mov_b32_e32 v110, 0                                      // 000000003230: 7EDC0280
	v_mov_b32_e32 v78, 0                                       // 000000003234: 7E9C0280
	v_mov_b32_e32 v111, 0                                      // 000000003238: 7EDE0280
	v_mov_b32_e32 v79, 0                                       // 00000000323C: 7E9E0280
	v_mov_b32_e32 v112, 0                                      // 000000003240: 7EE00280
	v_mov_b32_e32 v80, 0                                       // 000000003244: 7EA00280
	v_mov_b32_e32 v113, 0                                      // 000000003248: 7EE20280
	v_mov_b32_e32 v81, 0                                       // 00000000324C: 7EA20280
	v_mov_b32_e32 v114, 0                                      // 000000003250: 7EE40280
	v_mov_b32_e32 v82, 0                                       // 000000003254: 7EA40280
	v_mov_b32_e32 v115, 0                                      // 000000003258: 7EE60280
	v_mov_b32_e32 v83, 0                                       // 00000000325C: 7EA60280
	v_mov_b32_e32 v116, 0                                      // 000000003260: 7EE80280
	v_mov_b32_e32 v84, 0                                       // 000000003264: 7EA80280
	v_mov_b32_e32 v117, 0                                      // 000000003268: 7EEA0280
	v_mov_b32_e32 v85, 0                                       // 00000000326C: 7EAA0280
	v_mov_b32_e32 v118, 0                                      // 000000003270: 7EEC0280
	v_mov_b32_e32 v86, 0                                       // 000000003274: 7EAC0280
	v_mov_b32_e32 v119, 0                                      // 000000003278: 7EEE0280
	v_mov_b32_e32 v87, 0                                       // 00000000327C: 7EAE0280
	v_mov_b32_e32 v120, 0                                      // 000000003280: 7EF00280
	v_mov_b32_e32 v88, 0                                       // 000000003284: 7EB00280
	v_mov_b32_e32 v121, 0                                      // 000000003288: 7EF20280
	v_mov_b32_e32 v89, 0                                       // 00000000328C: 7EB20280
	v_mov_b32_e32 v122, 0                                      // 000000003290: 7EF40280
	v_mov_b32_e32 v90, 0                                       // 000000003294: 7EB40280
	v_mov_b32_e32 v123, 0                                      // 000000003298: 7EF60280
	v_mov_b32_e32 v91, 0                                       // 00000000329C: 7EB60280
	v_mov_b32_e32 v124, 0                                      // 0000000032A0: 7EF80280
	v_mov_b32_e32 v92, 0                                       // 0000000032A4: 7EB80280
	v_mov_b32_e32 v125, 0                                      // 0000000032A8: 7EFA0280
	v_mov_b32_e32 v93, 0                                       // 0000000032AC: 7EBA0280
	v_mov_b32_e32 v126, 0                                      // 0000000032B0: 7EFC0280
	v_mov_b32_e32 v94, 0                                       // 0000000032B4: 7EBC0280
	v_mov_b32_e32 v127, 0                                      // 0000000032B8: 7EFE0280
	v_mov_b32_e32 v95, 0                                       // 0000000032BC: 7EBE0280
	v_mov_b32_e32 v128, 0                                      // 0000000032C0: 7F000280
	v_mov_b32_e32 v96, 0                                       // 0000000032C4: 7EC00280
	v_mov_b32_e32 v129, 0                                      // 0000000032C8: 7F020280
	v_mov_b32_e32 v97, 0                                       // 0000000032CC: 7EC20280
	v_mov_b32_e32 v130, 0                                      // 0000000032D0: 7F040280
	v_mov_b32_e32 v98, 0                                       // 0000000032D4: 7EC40280
	v_mov_b32_e32 v131, 0                                      // 0000000032D8: 7F060280
	v_mov_b32_e32 v99, 0                                       // 0000000032DC: 7EC60280
	s_waitcnt lgkmcnt(0)                                       // 0000000032E0: BF8CC07F
	s_mul_i32 s64, s76, 0x400                                  // 0000000032E4: 9240FF4C 00000400
	s_lshl_b32 s54, s72, 2                                     // 0000000032EC: 8E368248
	s_load_dword s60, s[44:45], s54                            // 0000000032F0: C0000F16 00000036
	s_load_dword s61, s[40:41], s54                            // 0000000032F8: C0000F54 00000036
	s_lshl_b32 s68, s76, 2                                     // 000000003300: 8E44824C
	s_cmp_lt_u32 s76, s77                                      // 000000003304: BF0A4D4C
	s_cselect_b32 s68, s68, 0                                  // 000000003308: 85448044
	s_addk_i32 s76, 0x1                                        // 00000000330C: B74C0001
	s_load_dword s59, s[42:43], s68                            // 000000003310: C0000ED5 00000044
	s_and_b32 s79, s79, 0xffff                                 // 000000003318: 864FFF4F 0000FFFF
	v_cvt_f32_u32_e32 v196, s53                                // 000000003320: 7F880C35
	s_sub_i32 s78, 0, s53                                      // 000000003324: 81CE3580
	v_rcp_iflag_f32_e32 v196, v196                             // 000000003328: 7F8847C4
	s_nop 0                                                    // 00000000332C: BF800000
	v_mul_f32_e32 v196, 0x4f7ffffe, v196                       // 000000003330: 0B8988FF 4F7FFFFE
	v_cvt_u32_f32_e32 v196, v196                               // 000000003338: 7F880FC4
	v_mul_lo_u32 v197, s78, v196                               // 00000000333C: D28500C5 0003884E
	v_mul_hi_u32 v197, v196, v197                              // 000000003344: D28600C5 00038BC4
	v_add_u32_e32 v196, v196, v197                             // 00000000334C: 69898BC4
	v_mul_hi_u32 v196, s79, v196                               // 000000003350: D28600C4 0003884F
	v_mul_lo_u32 v197, v196, s53                               // 000000003358: D28500C5 00006BC4
	v_sub_u32_e32 v199, s79, v197                              // 000000003360: 6B8F8A4F
	v_add_u32_e32 v198, 1, v196                                // 000000003364: 698D8881
	v_cmp_le_u32_e32 vcc, s53, v199                            // 000000003368: 7D978E35
	v_subrev_u32_e32 v197, s53, v199                           // 00000000336C: 6D8B8E35
	s_nop 0                                                    // 000000003370: BF800000
	v_cndmask_b32_e32 v196, v196, v198, vcc                    // 000000003374: 01898DC4
	v_cndmask_b32_e32 v199, v199, v197, vcc                    // 000000003378: 018F8BC7
	v_add_u32_e32 v197, 1, v196                                // 00000000337C: 698B8881
	v_cmp_le_u32_e32 vcc, s53, v199                            // 000000003380: 7D978E35
	s_nop 1                                                    // 000000003384: BF800001
	v_cndmask_b32_e32 v199, v196, v197, vcc                    // 000000003388: 018F8BC4
	s_nop 3                                                    // 00000000338C: BF800003
	v_readfirstlane_b32 s78, v199                              // 000000003390: 7E9C05C7
	s_nop 3                                                    // 000000003394: BF800003
	s_mul_i32 s65, s53, 0x100                                  // 000000003398: 9241FF35 00000100
	s_add_u32 s54, s52, 1                                      // 0000000033A0: 80368134
	s_mul_i32 s54, s49, s54                                    // 0000000033A4: 92363631
	s_mul_i32 s54, s72, s54                                    // 0000000033A8: 92363648
	s_mul_i32 s55, s78, s65                                    // 0000000033AC: 9237414E
	s_add_u32 s54, s54, s55                                    // 0000000033B0: 80363736
	s_add_u32 s8, s84, s54                                     // 0000000033B4: 80083654
	s_addc_u32 s9, s85, 0                                      // 0000000033B8: 82098055
	s_mul_i32 s54, s52, s49                                    // 0000000033BC: 92363134
	s_add_u32 s10, s54, s65                                    // 0000000033C0: 800A4136
	s_add_u32 s54, s52, 1                                      // 0000000033C4: 80368134
	s_mul_i32 s54, s54, s67                                    // 0000000033C8: 92364336
	s_mul_i32 s54, s54, s72                                    // 0000000033CC: 92364836
	s_mul_i32 s55, s78, s65                                    // 0000000033D0: 9237414E
	s_add_u32 s54, s54, s55                                    // 0000000033D4: 80363736
	s_add_u32 s4, s82, s54                                     // 0000000033D8: 80043652
	s_addc_u32 s5, s83, 0                                      // 0000000033DC: 82058053
	s_mul_i32 s54, s52, s67                                    // 0000000033E0: 92364334
	s_add_u32 s6, s54, s65                                     // 0000000033E4: 80064136
	s_mul_i32 s55, s53, 0x200                                  // 0000000033E8: 9237FF35 00000200
	s_mul_i32 s54, s73, s48                                    // 0000000033F0: 92363049
	s_add_u32 s54, s54, s78                                    // 0000000033F4: 80364E36
	s_mul_i32 s54, s54, s55                                    // 0000000033F8: 92363736
	s_add_u32 s28, s94, s54                                    // 0000000033FC: 801C365E
	s_addc_u32 s29, s95, 0                                     // 000000003400: 821D805F
	s_add_u32 s54, s52, 1                                      // 000000003404: 80368134
	s_mul_i32 s54, s54, s48                                    // 000000003408: 92363036
	s_mul_i32 s30, s54, s55                                    // 00000000340C: 921E3736
	s_mul_i32 s55, s53, 4                                      // 000000003410: 92378435
	s_mul_i32 s54, s73, s48                                    // 000000003414: 92363049
	s_add_u32 s54, s54, s78                                    // 000000003418: 80364E36
	s_mul_i32 s54, s54, s55                                    // 00000000341C: 92363736
	s_add_u32 s32, s96, s54                                    // 000000003420: 80203660
	s_addc_u32 s33, s97, 0                                     // 000000003424: 82218061
	s_add_u32 s54, s52, 1                                      // 000000003428: 80368134
	s_mul_i32 s54, s54, s48                                    // 00000000342C: 92363036
	s_mul_i32 s34, s54, s55                                    // 000000003430: 92223736
	buffer_load_dwordx4 v[4:7], v217, s[8:11], 0 offen         // 000000003434: E05C1000 800204D9
	buffer_load_dwordx4 v[8:11], v218, s[8:11], 0 offen        // 00000000343C: E05C1000 800208DA
	buffer_load_dwordx4 v[12:15], v219, s[8:11], 0 offen       // 000000003444: E05C1000 80020CDB
	buffer_load_dwordx4 v[16:19], v220, s[8:11], 0 offen       // 00000000344C: E05C1000 800210DC
	s_waitcnt lgkmcnt(0)                                       // 000000003454: BF8CC07F
	s_mul_i32 s54, s60, 0x400                                  // 000000003458: 9236FF3C 00000400
	s_sub_i32 s64, s64, s54                                    // 000000003460: 81C03640
	s_mul_i32 s69, s59, s50                                    // 000000003464: 9245323B
	s_mul_i32 s71, s59, s66                                    // 000000003468: 9247423B
	s_mul_i32 s54, s78, s51                                    // 00000000346C: 9236334E
	s_add_u32 s69, s69, s54                                    // 000000003470: 80453645
	s_mov_b32 s70, s69                                         // 000000003474: BEC60045
	s_mul_i32 s54, s78, s100                                   // 000000003478: 9236644E
	s_add_u32 s71, s71, s54                                    // 00000000347C: 80473647
	s_add_u32 s12, s86, s69                                    // 000000003480: 800C4556
	s_addc_u32 s13, s87, 0                                     // 000000003484: 820D8057
	s_add_u32 s16, s88, s70                                    // 000000003488: 80104658
	s_addc_u32 s17, s89, 0                                     // 00000000348C: 82118059
	s_add_u32 s20, s90, s71                                    // 000000003490: 8014475A
	s_addc_u32 s21, s91, 0                                     // 000000003494: 8215805B
	s_add_u32 s24, s92, s71                                    // 000000003498: 8018475C
	s_addc_u32 s25, s93, 0                                     // 00000000349C: 8219805D
	s_add_u32 s69, s69, 0x1000                                 // 0000000034A0: 8045FF45 00001000
	s_add_u32 s70, s70, 0x8000                                 // 0000000034A8: 8046FF46 00008000
	s_add_u32 s71, s71, 0x400                                  // 0000000034B0: 8047FF47 00000400
	buffer_load_dwordx4 a[32:35], v225, s[12:15], 0 offen      // 0000000034B8: E05C1000 808320E1
	buffer_load_dwordx4 a[36:39], v226, s[12:15], 0 offen      // 0000000034C0: E05C1000 808324E2
	buffer_load_dwordx4 a[40:43], v225, s[12:15], 0 offen offset:1024// 0000000034C8: E05C1400 808328E1
	buffer_load_dwordx4 a[44:47], v226, s[12:15], 0 offen offset:1024// 0000000034D0: E05C1400 80832CE2
	buffer_load_dwordx4 a[48:51], v225, s[12:15], 0 offen offset:2048// 0000000034D8: E05C1800 808330E1
	buffer_load_dwordx4 a[52:55], v226, s[12:15], 0 offen offset:2048// 0000000034E0: E05C1800 808334E2
	buffer_load_dwordx4 a[56:59], v225, s[12:15], 0 offen offset:3072// 0000000034E8: E05C1C00 808338E1
	buffer_load_dwordx4 a[60:63], v226, s[12:15], 0 offen offset:3072// 0000000034F0: E05C1C00 80833CE2
	buffer_load_dword v140, v231, s[20:23], 0 offen            // 0000000034F8: E0501000 80058CE7
	buffer_load_dword v142, v232, s[24:27], 0 offen            // 000000003500: E0501000 80068EE8
	buffer_load_dwordx4 a[96:99], v227, s[16:19], 0 offen      // 000000003508: E05C1000 808460E3
	buffer_load_dwordx4 a[100:103], v228, s[16:19], 0 offen    // 000000003510: E05C1000 808464E4
	buffer_load_dwordx4 a[104:107], v229, s[16:19], 0 offen    // 000000003518: E05C1000 808468E5
	buffer_load_dwordx4 a[108:111], v230, s[16:19], 0 offen    // 000000003520: E05C1000 80846CE6
	buffer_load_dwordx4 a[112:115], v227, s[16:19], 0 offen offset:1024// 000000003528: E05C1400 808470E3
	buffer_load_dwordx4 a[116:119], v228, s[16:19], 0 offen offset:1024// 000000003530: E05C1400 808474E4
	buffer_load_dwordx4 a[120:123], v229, s[16:19], 0 offen offset:1024// 000000003538: E05C1400 808478E5
	buffer_load_dwordx4 a[124:127], v230, s[16:19], 0 offen offset:1024// 000000003540: E05C1400 80847CE6
	s_sub_i32 s54, s77, s60                                    // 000000003548: 81B63C4D
	s_mul_i32 s62, s54, 0x400                                  // 00000000354C: 923EFF36 00000400
	s_cmp_lt_i32 s62, s61                                      // 000000003554: BF043D3E
	s_cselect_b32 s62, s62, s61                                // 000000003558: 853E3D3E
	s_sub_i32 s54, s61, s52                                    // 00000000355C: 81B6343D
	v_and_b32_e32 v180, 15, v0                                 // 000000003560: 2768008F
	v_add_u32_e32 v181, 16, v180                               // 000000003564: 696B6890
	v_add_u32_e32 v182, 16, v181                               // 000000003568: 696D6A90
	v_add_u32_e32 v183, 16, v182                               // 00000000356C: 696F6C90
	s_cmp_lt_i32 s62, s54                                      // 000000003570: BF04363E
	s_cselect_b32 s63, s62, s54                                // 000000003574: 853F363E
	s_and_b32 s63, s63, 0xffffff00                             // 000000003578: 863FFF3F FFFFFF00
	v_cvt_f32_u32_e32 v196, s53                                // 000000003580: 7F880C35
	v_sub_i32 v184, 0, s53                                     // 000000003584: D29D00B8 00006A80
	v_rcp_iflag_f32_e32 v196, v196                             // 00000000358C: 7F8847C4
	s_nop 0                                                    // 000000003590: BF800000
	v_mul_f32_e32 v196, 0x4f7ffffe, v196                       // 000000003594: 0B8988FF 4F7FFFFE
	v_cvt_u32_f32_e32 v196, v196                               // 00000000359C: 7F880FC4
	v_mul_lo_u32 v197, v184, v196                              // 0000000035A0: D28500C5 000389B8
	v_mul_hi_u32 v197, v196, v197                              // 0000000035A8: D28600C5 00038BC4
	v_add_u32_e32 v196, v196, v197                             // 0000000035B0: 69898BC4
	v_mul_hi_u32 v196, v180, v196                              // 0000000035B4: D28600C4 000389B4
	v_mul_lo_u32 v197, v196, s53                               // 0000000035BC: D28500C5 00006BC4
	v_sub_u32_e32 v199, v180, v197                             // 0000000035C4: 6B8F8BB4
	v_add_u32_e32 v198, 1, v196                                // 0000000035C8: 698D8881
	v_cmp_le_u32_e32 vcc, s53, v199                            // 0000000035CC: 7D978E35
	v_subrev_u32_e32 v197, s53, v199                           // 0000000035D0: 6D8B8E35
	s_nop 0                                                    // 0000000035D4: BF800000
	v_cndmask_b32_e32 v196, v196, v198, vcc                    // 0000000035D8: 01898DC4
	v_cndmask_b32_e32 v199, v199, v197, vcc                    // 0000000035DC: 018F8BC7
	v_add_u32_e32 v197, 1, v196                                // 0000000035E0: 698B8881
	v_cmp_le_u32_e32 vcc, s53, v199                            // 0000000035E4: 7D978E35
	s_nop 1                                                    // 0000000035E8: BF800001
	v_cndmask_b32_e32 v184, v196, v197, vcc                    // 0000000035EC: 01718BC4
	v_add_u32_e32 v211, s54, v184                              // 0000000035F0: 69A77036
	v_cmp_lt_u32_e32 vcc, s62, v211                            // 0000000035F4: 7D93A63E
	v_mov_b32_e32 v197, s62                                    // 0000000035F8: 7F8A023E
	v_cndmask_b32_e32 v211, v211, v197, vcc                    // 0000000035FC: 01A78BD3
	v_cvt_f32_u32_e32 v196, s53                                // 000000003600: 7F880C35
	v_sub_i32 v184, 0, s53                                     // 000000003604: D29D00B8 00006A80
	v_rcp_iflag_f32_e32 v196, v196                             // 00000000360C: 7F8847C4
	s_nop 0                                                    // 000000003610: BF800000
	v_mul_f32_e32 v196, 0x4f7ffffe, v196                       // 000000003614: 0B8988FF 4F7FFFFE
	v_cvt_u32_f32_e32 v196, v196                               // 00000000361C: 7F880FC4
	v_mul_lo_u32 v197, v184, v196                              // 000000003620: D28500C5 000389B8
	v_mul_hi_u32 v197, v196, v197                              // 000000003628: D28600C5 00038BC4
	v_add_u32_e32 v196, v196, v197                             // 000000003630: 69898BC4
	v_mul_hi_u32 v196, v181, v196                              // 000000003634: D28600C4 000389B5
	v_mul_lo_u32 v197, v196, s53                               // 00000000363C: D28500C5 00006BC4
	v_sub_u32_e32 v199, v181, v197                             // 000000003644: 6B8F8BB5
	v_add_u32_e32 v198, 1, v196                                // 000000003648: 698D8881
	v_cmp_le_u32_e32 vcc, s53, v199                            // 00000000364C: 7D978E35
	v_subrev_u32_e32 v197, s53, v199                           // 000000003650: 6D8B8E35
	s_nop 0                                                    // 000000003654: BF800000
	v_cndmask_b32_e32 v196, v196, v198, vcc                    // 000000003658: 01898DC4
	v_cndmask_b32_e32 v199, v199, v197, vcc                    // 00000000365C: 018F8BC7
	v_add_u32_e32 v197, 1, v196                                // 000000003660: 698B8881
	v_cmp_le_u32_e32 vcc, s53, v199                            // 000000003664: 7D978E35
	s_nop 1                                                    // 000000003668: BF800001
	v_cndmask_b32_e32 v184, v196, v197, vcc                    // 00000000366C: 01718BC4
	v_add_u32_e32 v212, s54, v184                              // 000000003670: 69A97036
	v_cmp_lt_u32_e32 vcc, s62, v212                            // 000000003674: 7D93A83E
	v_mov_b32_e32 v197, s62                                    // 000000003678: 7F8A023E
	v_cndmask_b32_e32 v212, v212, v197, vcc                    // 00000000367C: 01A98BD4
	v_cvt_f32_u32_e32 v196, s53                                // 000000003680: 7F880C35
	v_sub_i32 v184, 0, s53                                     // 000000003684: D29D00B8 00006A80
	v_rcp_iflag_f32_e32 v196, v196                             // 00000000368C: 7F8847C4
	s_nop 0                                                    // 000000003690: BF800000
	v_mul_f32_e32 v196, 0x4f7ffffe, v196                       // 000000003694: 0B8988FF 4F7FFFFE
	v_cvt_u32_f32_e32 v196, v196                               // 00000000369C: 7F880FC4
	v_mul_lo_u32 v197, v184, v196                              // 0000000036A0: D28500C5 000389B8
	v_mul_hi_u32 v197, v196, v197                              // 0000000036A8: D28600C5 00038BC4
	v_add_u32_e32 v196, v196, v197                             // 0000000036B0: 69898BC4
	v_mul_hi_u32 v196, v182, v196                              // 0000000036B4: D28600C4 000389B6
	v_mul_lo_u32 v197, v196, s53                               // 0000000036BC: D28500C5 00006BC4
	v_sub_u32_e32 v199, v182, v197                             // 0000000036C4: 6B8F8BB6
	v_add_u32_e32 v198, 1, v196                                // 0000000036C8: 698D8881
	v_cmp_le_u32_e32 vcc, s53, v199                            // 0000000036CC: 7D978E35
	v_subrev_u32_e32 v197, s53, v199                           // 0000000036D0: 6D8B8E35
	s_nop 0                                                    // 0000000036D4: BF800000
	v_cndmask_b32_e32 v196, v196, v198, vcc                    // 0000000036D8: 01898DC4
	v_cndmask_b32_e32 v199, v199, v197, vcc                    // 0000000036DC: 018F8BC7
	v_add_u32_e32 v197, 1, v196                                // 0000000036E0: 698B8881
	v_cmp_le_u32_e32 vcc, s53, v199                            // 0000000036E4: 7D978E35
	s_nop 1                                                    // 0000000036E8: BF800001
	v_cndmask_b32_e32 v184, v196, v197, vcc                    // 0000000036EC: 01718BC4
	v_add_u32_e32 v213, s54, v184                              // 0000000036F0: 69AB7036
	v_cmp_lt_u32_e32 vcc, s62, v213                            // 0000000036F4: 7D93AA3E
	v_mov_b32_e32 v197, s62                                    // 0000000036F8: 7F8A023E
	v_cndmask_b32_e32 v213, v213, v197, vcc                    // 0000000036FC: 01AB8BD5
	v_cvt_f32_u32_e32 v196, s53                                // 000000003700: 7F880C35
	v_sub_i32 v184, 0, s53                                     // 000000003704: D29D00B8 00006A80
	v_rcp_iflag_f32_e32 v196, v196                             // 00000000370C: 7F8847C4
	s_nop 0                                                    // 000000003710: BF800000
	v_mul_f32_e32 v196, 0x4f7ffffe, v196                       // 000000003714: 0B8988FF 4F7FFFFE
	v_cvt_u32_f32_e32 v196, v196                               // 00000000371C: 7F880FC4
	v_mul_lo_u32 v197, v184, v196                              // 000000003720: D28500C5 000389B8
	v_mul_hi_u32 v197, v196, v197                              // 000000003728: D28600C5 00038BC4
	v_add_u32_e32 v196, v196, v197                             // 000000003730: 69898BC4
	v_mul_hi_u32 v196, v183, v196                              // 000000003734: D28600C4 000389B7
	v_mul_lo_u32 v197, v196, s53                               // 00000000373C: D28500C5 00006BC4
	v_sub_u32_e32 v199, v183, v197                             // 000000003744: 6B8F8BB7
	v_add_u32_e32 v198, 1, v196                                // 000000003748: 698D8881
	v_cmp_le_u32_e32 vcc, s53, v199                            // 00000000374C: 7D978E35
	v_subrev_u32_e32 v197, s53, v199                           // 000000003750: 6D8B8E35
	s_nop 0                                                    // 000000003754: BF800000
	v_cndmask_b32_e32 v196, v196, v198, vcc                    // 000000003758: 01898DC4
	v_cndmask_b32_e32 v199, v199, v197, vcc                    // 00000000375C: 018F8BC7
	v_add_u32_e32 v197, 1, v196                                // 000000003760: 698B8881
	v_cmp_le_u32_e32 vcc, s53, v199                            // 000000003764: 7D978E35
	s_nop 1                                                    // 000000003768: BF800001
	v_cndmask_b32_e32 v184, v196, v197, vcc                    // 00000000376C: 01718BC4
	v_add_u32_e32 v214, s54, v184                              // 000000003770: 69AD7036
	v_cmp_lt_u32_e32 vcc, s62, v214                            // 000000003774: 7D93AC3E
	v_mov_b32_e32 v197, s62                                    // 000000003778: 7F8A023E
	v_cndmask_b32_e32 v214, v214, v197, vcc                    // 00000000377C: 01AD8BD6
	s_waitcnt vmcnt(18)                                        // 000000003780: BF8C4F72
	v_lshlrev_b32_e32 v20, 16, v4                              // 000000003784: 24280890
	v_and_b32_e32 v21, 0xffff0000, v4                          // 000000003788: 262A08FF FFFF0000
	v_lshlrev_b32_e32 v22, 16, v5                              // 000000003790: 242C0A90
	v_and_b32_e32 v23, 0xffff0000, v5                          // 000000003794: 262E0AFF FFFF0000
	v_lshlrev_b32_e32 v24, 16, v6                              // 00000000379C: 24300C90
	v_and_b32_e32 v25, 0xffff0000, v6                          // 0000000037A0: 26320CFF FFFF0000
	v_lshlrev_b32_e32 v26, 16, v7                              // 0000000037A8: 24340E90
	v_and_b32_e32 v27, 0xffff0000, v7                          // 0000000037AC: 26360EFF FFFF0000
	v_lshlrev_b32_e32 v28, 16, v8                              // 0000000037B4: 24381090
	v_and_b32_e32 v29, 0xffff0000, v8                          // 0000000037B8: 263A10FF FFFF0000
	v_lshlrev_b32_e32 v30, 16, v9                              // 0000000037C0: 243C1290
	v_and_b32_e32 v31, 0xffff0000, v9                          // 0000000037C4: 263E12FF FFFF0000
	v_lshlrev_b32_e32 v32, 16, v10                             // 0000000037CC: 24401490
	v_and_b32_e32 v33, 0xffff0000, v10                         // 0000000037D0: 264214FF FFFF0000
	v_lshlrev_b32_e32 v34, 16, v11                             // 0000000037D8: 24441690
	v_and_b32_e32 v35, 0xffff0000, v11                         // 0000000037DC: 264616FF FFFF0000
	v_lshlrev_b32_e32 v36, 16, v12                             // 0000000037E4: 24481890
	v_and_b32_e32 v37, 0xffff0000, v12                         // 0000000037E8: 264A18FF FFFF0000
	v_lshlrev_b32_e32 v38, 16, v13                             // 0000000037F0: 244C1A90
	v_and_b32_e32 v39, 0xffff0000, v13                         // 0000000037F4: 264E1AFF FFFF0000
	v_lshlrev_b32_e32 v40, 16, v14                             // 0000000037FC: 24501C90
	v_and_b32_e32 v41, 0xffff0000, v14                         // 000000003800: 26521CFF FFFF0000
	v_lshlrev_b32_e32 v42, 16, v15                             // 000000003808: 24541E90
	v_and_b32_e32 v43, 0xffff0000, v15                         // 00000000380C: 26561EFF FFFF0000
	v_lshlrev_b32_e32 v44, 16, v16                             // 000000003814: 24582090
	v_and_b32_e32 v45, 0xffff0000, v16                         // 000000003818: 265A20FF FFFF0000
	v_lshlrev_b32_e32 v46, 16, v17                             // 000000003820: 245C2290
	v_and_b32_e32 v47, 0xffff0000, v17                         // 000000003824: 265E22FF FFFF0000
	v_lshlrev_b32_e32 v48, 16, v18                             // 00000000382C: 24602490
	v_and_b32_e32 v49, 0xffff0000, v18                         // 000000003830: 266224FF FFFF0000
	v_lshlrev_b32_e32 v50, 16, v19                             // 000000003838: 24642690
	v_and_b32_e32 v51, 0xffff0000, v19                         // 00000000383C: 266626FF FFFF0000
	v_mov_b32_e32 v176, 0x358637bd                             // 000000003844: 7F6002FF 358637BD
	v_max3_f32 v176, |v20|, |v21|, v176                        // 00000000384C: D1D303B0 06C22B14
	v_max3_f32 v176, |v22|, |v23|, v176                        // 000000003854: D1D303B0 06C22F16
	v_max3_f32 v176, |v24|, |v25|, v176                        // 00000000385C: D1D303B0 06C23318
	v_max3_f32 v176, |v26|, |v27|, v176                        // 000000003864: D1D303B0 06C2371A
	v_mov_b32_e32 v177, 0x358637bd                             // 00000000386C: 7F6202FF 358637BD
	v_max3_f32 v177, |v28|, |v29|, v177                        // 000000003874: D1D303B1 06C63B1C
	v_max3_f32 v177, |v30|, |v31|, v177                        // 00000000387C: D1D303B1 06C63F1E
	v_max3_f32 v177, |v32|, |v33|, v177                        // 000000003884: D1D303B1 06C64320
	v_max3_f32 v177, |v34|, |v35|, v177                        // 00000000388C: D1D303B1 06C64722
	v_mov_b32_e32 v178, 0x358637bd                             // 000000003894: 7F6402FF 358637BD
	v_max3_f32 v178, |v36|, |v37|, v178                        // 00000000389C: D1D303B2 06CA4B24
	v_max3_f32 v178, |v38|, |v39|, v178                        // 0000000038A4: D1D303B2 06CA4F26
	v_max3_f32 v178, |v40|, |v41|, v178                        // 0000000038AC: D1D303B2 06CA5328
	v_max3_f32 v178, |v42|, |v43|, v178                        // 0000000038B4: D1D303B2 06CA572A
	v_mov_b32_e32 v179, 0x358637bd                             // 0000000038BC: 7F6602FF 358637BD
	v_max3_f32 v179, |v44|, |v45|, v179                        // 0000000038C4: D1D303B3 06CE5B2C
	v_max3_f32 v179, |v46|, |v47|, v179                        // 0000000038CC: D1D303B3 06CE5F2E
	v_max3_f32 v179, |v48|, |v49|, v179                        // 0000000038D4: D1D303B3 06CE6330
	v_max3_f32 v179, |v50|, |v51|, v179                        // 0000000038DC: D1D303B3 06CE6732
	v_max_f32_dpp v176, v176, v176 row_shl:8 row_mask:0xf bank_mask:0xf bound_ctrl:1// 0000000038E4: 176160FA FF0908B0
	v_max_f32_dpp v177, v177, v177 row_shl:8 row_mask:0xf bank_mask:0xf bound_ctrl:1// 0000000038EC: 176362FA FF0908B1
	v_max_f32_dpp v178, v178, v178 row_shl:8 row_mask:0xf bank_mask:0xf bound_ctrl:1// 0000000038F4: 176564FA FF0908B2
	v_max_f32_dpp v179, v179, v179 row_shl:8 row_mask:0xf bank_mask:0xf bound_ctrl:1// 0000000038FC: 176766FA FF0908B3
	v_max_f32_dpp v176, v176, v176 row_shl:4 row_mask:0xf bank_mask:0xf bound_ctrl:1// 000000003904: 176160FA FF0904B0
	v_max_f32_dpp v177, v177, v177 row_shl:4 row_mask:0xf bank_mask:0xf bound_ctrl:1// 00000000390C: 176362FA FF0904B1
	v_max_f32_dpp v178, v178, v178 row_shl:4 row_mask:0xf bank_mask:0xf bound_ctrl:1// 000000003914: 176564FA FF0904B2
	v_max_f32_dpp v179, v179, v179 row_shl:4 row_mask:0xf bank_mask:0xf bound_ctrl:1// 00000000391C: 176766FA FF0904B3
	v_max_f32_dpp v176, v176, v176 row_shl:2 row_mask:0xf bank_mask:0xf bound_ctrl:1// 000000003924: 176160FA FF0902B0
	v_max_f32_dpp v177, v177, v177 row_shl:2 row_mask:0xf bank_mask:0xf bound_ctrl:1// 00000000392C: 176362FA FF0902B1
	v_max_f32_dpp v178, v178, v178 row_shl:2 row_mask:0xf bank_mask:0xf bound_ctrl:1// 000000003934: 176564FA FF0902B2
	v_max_f32_dpp v179, v179, v179 row_shl:2 row_mask:0xf bank_mask:0xf bound_ctrl:1// 00000000393C: 176766FA FF0902B3
	v_max_f32_dpp v176, v176, v176 row_shl:1 row_mask:0xf bank_mask:0xf bound_ctrl:1// 000000003944: 176160FA FF0901B0
	v_max_f32_dpp v177, v177, v177 row_shl:1 row_mask:0xf bank_mask:0xf bound_ctrl:1// 00000000394C: 176362FA FF0901B1
	v_max_f32_dpp v178, v178, v178 row_shl:1 row_mask:0xf bank_mask:0xf bound_ctrl:1// 000000003954: 176564FA FF0901B2
	v_max_f32_dpp v179, v179, v179 row_shl:1 row_mask:0xf bank_mask:0xf bound_ctrl:1// 00000000395C: 176766FA FF0901B3
	ds_write_b128 v241, v[176:179] offset:4096                 // 000000003964: D9BE1000 0000B0F1
	s_waitcnt lgkmcnt(0)                                       // 00000000396C: BF8CC07F
	s_barrier                                                  // 000000003970: BF8A0000
	ds_read_b128 v[176:179], v243 offset:4096                  // 000000003974: D9FE1000 B00000F3
	s_waitcnt lgkmcnt(0)                                       // 00000000397C: BF8CC07F
	v_rcp_f32_e32 v176, v176                                   // 000000003980: 7F6045B0
	v_rcp_f32_e32 v177, v177                                   // 000000003984: 7F6245B1
	v_rcp_f32_e32 v178, v178                                   // 000000003988: 7F6445B2
	v_rcp_f32_e32 v179, v179                                   // 00000000398C: 7F6645B3
	v_mul_f32_e32 v176, 0x43700000, v176                       // 000000003990: 0B6160FF 43700000
	v_mul_f32_e32 v177, 0x43700000, v177                       // 000000003998: 0B6362FF 43700000
	v_mul_f32_e32 v178, 0x43700000, v178                       // 0000000039A0: 0B6564FF 43700000
	v_mul_f32_e32 v179, 0x43700000, v179                       // 0000000039A8: 0B6766FF 43700000
	s_lshl_b32 s54, s57, 2                                     // 0000000039B0: 8E368239
	v_lshrrev_b32_e32 v199, 4, v0                              // 0000000039B4: 218E0084
	v_add_u32_e32 v199, s54, v199                              // 0000000039B8: 698F8E36
	v_lshlrev_b32_e32 v199, 2, v199                            // 0000000039BC: 258F8E82
	ds_bpermute_b32 v196, v199, v176                           // 0000000039C0: D87E0000 C400B0C7
	ds_bpermute_b32 v197, v199, v177                           // 0000000039C8: D87E0000 C500B1C7
	ds_bpermute_b32 v198, v199, v178                           // 0000000039D0: D87E0000 C600B2C7
	ds_bpermute_b32 v199, v199, v179                           // 0000000039D8: D87E0000 C700B3C7
	v_rcp_f32_e32 v132, v176                                   // 0000000039E0: 7F0845B0
	v_rcp_f32_e32 v134, v177                                   // 0000000039E4: 7F0C45B1
	v_rcp_f32_e32 v136, v178                                   // 0000000039E8: 7F1045B2
	v_rcp_f32_e32 v138, v179                                   // 0000000039EC: 7F1445B3
	v_mov_b32_e32 v133, v132                                   // 0000000039F0: 7F0A0384
	v_mov_b32_e32 v135, v134                                   // 0000000039F4: 7F0E0386
	v_mov_b32_e32 v137, v136                                   // 0000000039F8: 7F120388
	v_mov_b32_e32 v139, v138                                   // 0000000039FC: 7F16038A
	s_waitcnt lgkmcnt(0)                                       // 000000003A00: BF8CC07F
	v_mul_f32_e32 v20, v20, v196                               // 000000003A04: 0A298914
	v_mul_f32_e32 v21, v21, v196                               // 000000003A08: 0A2B8915
	v_mul_f32_e32 v22, v22, v196                               // 000000003A0C: 0A2D8916
	v_mul_f32_e32 v23, v23, v196                               // 000000003A10: 0A2F8917
	v_mul_f32_e32 v24, v24, v196                               // 000000003A14: 0A318918
	v_mul_f32_e32 v25, v25, v196                               // 000000003A18: 0A338919
	v_mul_f32_e32 v26, v26, v196                               // 000000003A1C: 0A35891A
	v_mul_f32_e32 v27, v27, v196                               // 000000003A20: 0A37891B
	v_mul_f32_e32 v28, v28, v197                               // 000000003A24: 0A398B1C
	v_mul_f32_e32 v29, v29, v197                               // 000000003A28: 0A3B8B1D
	v_mul_f32_e32 v30, v30, v197                               // 000000003A2C: 0A3D8B1E
	v_mul_f32_e32 v31, v31, v197                               // 000000003A30: 0A3F8B1F
	v_mul_f32_e32 v32, v32, v197                               // 000000003A34: 0A418B20
	v_mul_f32_e32 v33, v33, v197                               // 000000003A38: 0A438B21
	v_mul_f32_e32 v34, v34, v197                               // 000000003A3C: 0A458B22
	v_mul_f32_e32 v35, v35, v197                               // 000000003A40: 0A478B23
	v_mul_f32_e32 v36, v36, v198                               // 000000003A44: 0A498D24
	v_mul_f32_e32 v37, v37, v198                               // 000000003A48: 0A4B8D25
	v_mul_f32_e32 v38, v38, v198                               // 000000003A4C: 0A4D8D26
	v_mul_f32_e32 v39, v39, v198                               // 000000003A50: 0A4F8D27
	v_mul_f32_e32 v40, v40, v198                               // 000000003A54: 0A518D28
	v_mul_f32_e32 v41, v41, v198                               // 000000003A58: 0A538D29
	v_mul_f32_e32 v42, v42, v198                               // 000000003A5C: 0A558D2A
	v_mul_f32_e32 v43, v43, v198                               // 000000003A60: 0A578D2B
	v_mul_f32_e32 v44, v44, v199                               // 000000003A64: 0A598F2C
	v_mul_f32_e32 v45, v45, v199                               // 000000003A68: 0A5B8F2D
	v_mul_f32_e32 v46, v46, v199                               // 000000003A6C: 0A5D8F2E
	v_mul_f32_e32 v47, v47, v199                               // 000000003A70: 0A5F8F2F
	v_mul_f32_e32 v48, v48, v199                               // 000000003A74: 0A618F30
	v_mul_f32_e32 v49, v49, v199                               // 000000003A78: 0A638F31
	v_mul_f32_e32 v50, v50, v199                               // 000000003A7C: 0A658F32
	v_mul_f32_e32 v51, v51, v199                               // 000000003A80: 0A678F33
	v_cvt_pk_fp8_f32 v20, v20, v21                             // 000000003A84: D2A20014 00022B14
	v_cvt_pk_fp8_f32 v20, v22, v23 op_sel:[0,0,1]              // 000000003A8C: D2A24014 00022F16
	v_cvt_pk_fp8_f32 v21, v24, v25                             // 000000003A94: D2A20015 00023318
	v_cvt_pk_fp8_f32 v21, v26, v27 op_sel:[0,0,1]              // 000000003A9C: D2A24015 0002371A
	v_cvt_pk_fp8_f32 v22, v28, v29                             // 000000003AA4: D2A20016 00023B1C
	v_cvt_pk_fp8_f32 v22, v30, v31 op_sel:[0,0,1]              // 000000003AAC: D2A24016 00023F1E
	v_cvt_pk_fp8_f32 v23, v32, v33                             // 000000003AB4: D2A20017 00024320
	v_cvt_pk_fp8_f32 v23, v34, v35 op_sel:[0,0,1]              // 000000003ABC: D2A24017 00024722
	v_cvt_pk_fp8_f32 v24, v36, v37                             // 000000003AC4: D2A20018 00024B24
	v_cvt_pk_fp8_f32 v24, v38, v39 op_sel:[0,0,1]              // 000000003ACC: D2A24018 00024F26
	v_cvt_pk_fp8_f32 v25, v40, v41                             // 000000003AD4: D2A20019 00025328
	v_cvt_pk_fp8_f32 v25, v42, v43 op_sel:[0,0,1]              // 000000003ADC: D2A24019 0002572A
	v_cvt_pk_fp8_f32 v26, v44, v45                             // 000000003AE4: D2A2001A 00025B2C
	v_cvt_pk_fp8_f32 v26, v46, v47 op_sel:[0,0,1]              // 000000003AEC: D2A2401A 00025F2E
	v_cvt_pk_fp8_f32 v27, v48, v49                             // 000000003AF4: D2A2001B 00026330
	v_cvt_pk_fp8_f32 v27, v50, v51 op_sel:[0,0,1]              // 000000003AFC: D2A2401B 00026732
	ds_write_b64 v242, v[20:21] offset:8192                    // 000000003B04: D89A2000 000014F2
	ds_write_b64 v242, v[22:23] offset:10496                   // 000000003B0C: D89A2900 000016F2
	ds_write_b64 v242, v[24:25] offset:12800                   // 000000003B14: D89A3200 000018F2
	ds_write_b64 v242, v[26:27] offset:15104                   // 000000003B1C: D89A3B00 00001AF2
	s_waitcnt lgkmcnt(0)                                       // 000000003B24: BF8CC07F
	s_barrier                                                  // 000000003B28: BF8A0000
	ds_read_b128 a[0:3], v244 offset:8192                      // 000000003B2C: DBFE2000 000000F4
	ds_read_b128 a[4:7], v244 offset:8256                      // 000000003B34: DBFE2040 040000F4
	ds_read_b128 a[8:11], v244 offset:10496                    // 000000003B3C: DBFE2900 080000F4
	ds_read_b128 a[12:15], v244 offset:10560                   // 000000003B44: DBFE2940 0C0000F4
	ds_read_b128 a[16:19], v244 offset:12800                   // 000000003B4C: DBFE3200 100000F4
	ds_read_b128 a[20:23], v244 offset:12864                   // 000000003B54: DBFE3240 140000F4
	ds_read_b128 a[24:27], v244 offset:15104                   // 000000003B5C: DBFE3B00 180000F4
	ds_read_b128 a[28:31], v244 offset:15168                   // 000000003B64: DBFE3B40 1C0000F4
	s_waitcnt lgkmcnt(0)                                       // 000000003B6C: BF8CC07F
	s_cmp_lt_i32 s57, 2                                        // 000000003B70: BF048239
	s_cbranch_scc0 label_1C36                                  // 000000003B74: BF841758

0000000000003b78 <label_04DE>:
	s_cmp_lt_i32 s64, s63                                      // 000000003B78: BF043F40
	s_cbranch_scc0 label_338E                                  // 000000003B7C: BF842EAE
	s_waitcnt vmcnt(10)                                        // 000000003B80: BF8C0F7A
	v_mfma_f32_16x16x32_fp8_fp8 v[4:7], a[32:33], a[0:1], 0    // 000000003B84: D3F30004 1A020120
	s_add_u32 s12, s86, s69                                    // 000000003B8C: 800C4556
	s_addc_u32 s13, s87, 0                                     // 000000003B90: 820D8057
	v_mfma_f32_16x16x32_fp8_fp8 v[4:7], a[34:35], a[2:3], v[4:7]// 000000003B94: D3F30004 1C120522
	s_add_u32 s16, s88, s70                                    // 000000003B9C: 80104658
	s_addc_u32 s17, s89, 0                                     // 000000003BA0: 82118059
	v_mfma_f32_16x16x32_fp8_fp8 v[4:7], a[36:37], a[4:5], v[4:7]// 000000003BA4: D3F30004 1C120924
	buffer_load_dwordx4 a[64:67], v225, s[12:15], 0 offen      // 000000003BAC: E05C1000 808340E1
	v_mfma_f32_16x16x32_fp8_fp8 v[4:7], a[38:39], a[6:7], v[4:7]// 000000003BB4: D3F30004 1C120D26
	s_add_u32 s20, s90, s71                                    // 000000003BBC: 8014475A
	s_addc_u32 s21, s91, 0                                     // 000000003BC0: 8215805B
	v_mfma_f32_16x16x32_fp8_fp8 v[8:11], a[40:41], a[0:1], 0   // 000000003BC4: D3F30008 1A020128
	s_add_u32 s24, s92, s71                                    // 000000003BCC: 8018475C
	s_addc_u32 s25, s93, 0                                     // 000000003BD0: 8219805D
	v_mfma_f32_16x16x32_fp8_fp8 v[8:11], a[42:43], a[2:3], v[8:11]// 000000003BD4: D3F30008 1C22052A
	s_add_u32 s69, s69, 0x1000                                 // 000000003BDC: 8045FF45 00001000
	s_add_u32 s70, s70, 0x8000                                 // 000000003BE4: 8046FF46 00008000
	v_mfma_f32_16x16x32_fp8_fp8 v[8:11], a[44:45], a[4:5], v[8:11]// 000000003BEC: D3F30008 1C22092C
	buffer_load_dwordx4 a[68:71], v226, s[12:15], 0 offen      // 000000003BF4: E05C1000 808344E2
	v_mfma_f32_16x16x32_fp8_fp8 v[8:11], a[46:47], a[6:7], v[8:11]// 000000003BFC: D3F30008 1C220D2E
	s_add_u32 s71, s71, 0x400                                  // 000000003C04: 8047FF47 00000400
	v_mfma_f32_16x16x32_fp8_fp8 v[12:15], a[48:49], a[0:1], 0  // 000000003C0C: D3F3000C 1A020130
	v_mfma_f32_16x16x32_fp8_fp8 v[12:15], a[50:51], a[2:3], v[12:15]// 000000003C14: D3F3000C 1C320532
	v_mfma_f32_16x16x32_fp8_fp8 v[12:15], a[52:53], a[4:5], v[12:15]// 000000003C1C: D3F3000C 1C320934
	buffer_load_dwordx4 a[72:75], v225, s[12:15], 0 offen offset:1024// 000000003C24: E05C1400 808348E1
	v_mfma_f32_16x16x32_fp8_fp8 v[12:15], a[54:55], a[6:7], v[12:15]// 000000003C2C: D3F3000C 1C320D36
	v_mfma_f32_16x16x32_fp8_fp8 v[16:19], a[56:57], a[0:1], 0  // 000000003C34: D3F30010 1A020138
	v_mfma_f32_16x16x32_fp8_fp8 v[16:19], a[58:59], a[2:3], v[16:19]// 000000003C3C: D3F30010 1C42053A
	v_mfma_f32_16x16x32_fp8_fp8 v[16:19], a[60:61], a[4:5], v[16:19]// 000000003C44: D3F30010 1C42093C
	buffer_load_dwordx4 a[76:79], v226, s[12:15], 0 offen offset:1024// 000000003C4C: E05C1400 80834CE2
	v_mfma_f32_16x16x32_fp8_fp8 v[16:19], a[62:63], a[6:7], v[16:19]// 000000003C54: D3F30010 1C420D3E
	v_mfma_f32_16x16x32_fp8_fp8 v[20:23], a[32:33], a[8:9], 0  // 000000003C5C: D3F30014 1A021120
	v_mfma_f32_16x16x32_fp8_fp8 v[20:23], a[34:35], a[10:11], v[20:23]// 000000003C64: D3F30014 1C521522
	v_mfma_f32_16x16x32_fp8_fp8 v[20:23], a[36:37], a[12:13], v[20:23]// 000000003C6C: D3F30014 1C521924
	buffer_load_dwordx4 a[80:83], v225, s[12:15], 0 offen offset:2048// 000000003C74: E05C1800 808350E1
	v_mfma_f32_16x16x32_fp8_fp8 v[20:23], a[38:39], a[14:15], v[20:23]// 000000003C7C: D3F30014 1C521D26
	v_mfma_f32_16x16x32_fp8_fp8 v[24:27], a[40:41], a[8:9], 0  // 000000003C84: D3F30018 1A021128
	v_mfma_f32_16x16x32_fp8_fp8 v[24:27], a[42:43], a[10:11], v[24:27]// 000000003C8C: D3F30018 1C62152A
	v_mfma_f32_16x16x32_fp8_fp8 v[24:27], a[44:45], a[12:13], v[24:27]// 000000003C94: D3F30018 1C62192C
	buffer_load_dwordx4 a[84:87], v226, s[12:15], 0 offen offset:2048// 000000003C9C: E05C1800 808354E2
	v_mfma_f32_16x16x32_fp8_fp8 v[24:27], a[46:47], a[14:15], v[24:27]// 000000003CA4: D3F30018 1C621D2E
	v_mfma_f32_16x16x32_fp8_fp8 v[28:31], a[48:49], a[8:9], 0  // 000000003CAC: D3F3001C 1A021130
	v_mfma_f32_16x16x32_fp8_fp8 v[28:31], a[50:51], a[10:11], v[28:31]// 000000003CB4: D3F3001C 1C721532
	v_mfma_f32_16x16x32_fp8_fp8 v[28:31], a[52:53], a[12:13], v[28:31]// 000000003CBC: D3F3001C 1C721934
	buffer_load_dwordx4 a[88:91], v225, s[12:15], 0 offen offset:3072// 000000003CC4: E05C1C00 808358E1
	v_mfma_f32_16x16x32_fp8_fp8 v[28:31], a[54:55], a[14:15], v[28:31]// 000000003CCC: D3F3001C 1C721D36
	v_mfma_f32_16x16x32_fp8_fp8 v[32:35], a[56:57], a[8:9], 0  // 000000003CD4: D3F30020 1A021138
	v_mfma_f32_16x16x32_fp8_fp8 v[32:35], a[58:59], a[10:11], v[32:35]// 000000003CDC: D3F30020 1C82153A
	v_mfma_f32_16x16x32_fp8_fp8 v[32:35], a[60:61], a[12:13], v[32:35]// 000000003CE4: D3F30020 1C82193C
	buffer_load_dwordx4 a[92:95], v226, s[12:15], 0 offen offset:3072// 000000003CEC: E05C1C00 80835CE2
	v_mfma_f32_16x16x32_fp8_fp8 v[32:35], a[62:63], a[14:15], v[32:35]// 000000003CF4: D3F30020 1C821D3E
	v_mfma_f32_16x16x32_fp8_fp8 v[36:39], a[32:33], a[16:17], 0// 000000003CFC: D3F30024 1A022120
	v_mfma_f32_16x16x32_fp8_fp8 v[36:39], a[34:35], a[18:19], v[36:39]// 000000003D04: D3F30024 1C922522
	v_mfma_f32_16x16x32_fp8_fp8 v[36:39], a[36:37], a[20:21], v[36:39]// 000000003D0C: D3F30024 1C922924
	v_mfma_f32_16x16x32_fp8_fp8 v[36:39], a[38:39], a[22:23], v[36:39]// 000000003D14: D3F30024 1C922D26
	v_mfma_f32_16x16x32_fp8_fp8 v[40:43], a[40:41], a[16:17], 0// 000000003D1C: D3F30028 1A022128
	v_mfma_f32_16x16x32_fp8_fp8 v[40:43], a[42:43], a[18:19], v[40:43]// 000000003D24: D3F30028 1CA2252A
	v_mfma_f32_16x16x32_fp8_fp8 v[40:43], a[44:45], a[20:21], v[40:43]// 000000003D2C: D3F30028 1CA2292C
	v_mfma_f32_16x16x32_fp8_fp8 v[40:43], a[46:47], a[22:23], v[40:43]// 000000003D34: D3F30028 1CA22D2E
	v_mfma_f32_16x16x32_fp8_fp8 v[44:47], a[48:49], a[16:17], 0// 000000003D3C: D3F3002C 1A022130
	v_mfma_f32_16x16x32_fp8_fp8 v[44:47], a[50:51], a[18:19], v[44:47]// 000000003D44: D3F3002C 1CB22532
	v_mfma_f32_16x16x32_fp8_fp8 v[44:47], a[52:53], a[20:21], v[44:47]// 000000003D4C: D3F3002C 1CB22934
	v_mfma_f32_16x16x32_fp8_fp8 v[44:47], a[54:55], a[22:23], v[44:47]// 000000003D54: D3F3002C 1CB22D36
	v_mfma_f32_16x16x32_fp8_fp8 v[48:51], a[56:57], a[16:17], 0// 000000003D5C: D3F30030 1A022138
	v_mfma_f32_16x16x32_fp8_fp8 v[48:51], a[58:59], a[18:19], v[48:51]// 000000003D64: D3F30030 1CC2253A
	v_mfma_f32_16x16x32_fp8_fp8 v[48:51], a[60:61], a[20:21], v[48:51]// 000000003D6C: D3F30030 1CC2293C
	v_mfma_f32_16x16x32_fp8_fp8 v[48:51], a[62:63], a[22:23], v[48:51]// 000000003D74: D3F30030 1CC22D3E
	v_mfma_f32_16x16x32_fp8_fp8 v[52:55], a[32:33], a[24:25], 0// 000000003D7C: D3F30034 1A023120
	v_mfma_f32_16x16x32_fp8_fp8 v[52:55], a[34:35], a[26:27], v[52:55]// 000000003D84: D3F30034 1CD23522
	v_mfma_f32_16x16x32_fp8_fp8 v[52:55], a[36:37], a[28:29], v[52:55]// 000000003D8C: D3F30034 1CD23924
	v_mfma_f32_16x16x32_fp8_fp8 v[52:55], a[38:39], a[30:31], v[52:55]// 000000003D94: D3F30034 1CD23D26
	v_mfma_f32_16x16x32_fp8_fp8 v[56:59], a[40:41], a[24:25], 0// 000000003D9C: D3F30038 1A023128
	v_mfma_f32_16x16x32_fp8_fp8 v[56:59], a[42:43], a[26:27], v[56:59]// 000000003DA4: D3F30038 1CE2352A
	v_mfma_f32_16x16x32_fp8_fp8 v[56:59], a[44:45], a[28:29], v[56:59]// 000000003DAC: D3F30038 1CE2392C
	v_mfma_f32_16x16x32_fp8_fp8 v[56:59], a[46:47], a[30:31], v[56:59]// 000000003DB4: D3F30038 1CE23D2E
	v_mfma_f32_16x16x32_fp8_fp8 v[60:63], a[48:49], a[24:25], 0// 000000003DBC: D3F3003C 1A023130
	v_mfma_f32_16x16x32_fp8_fp8 v[60:63], a[50:51], a[26:27], v[60:63]// 000000003DC4: D3F3003C 1CF23532
	v_mfma_f32_16x16x32_fp8_fp8 v[60:63], a[52:53], a[28:29], v[60:63]// 000000003DCC: D3F3003C 1CF23934
	v_mfma_f32_16x16x32_fp8_fp8 v[60:63], a[54:55], a[30:31], v[60:63]// 000000003DD4: D3F3003C 1CF23D36
	v_mfma_f32_16x16x32_fp8_fp8 v[64:67], a[56:57], a[24:25], 0// 000000003DDC: D3F30040 1A023138
	v_mfma_f32_16x16x32_fp8_fp8 v[64:67], a[58:59], a[26:27], v[64:67]// 000000003DE4: D3F30040 1D02353A
	v_mfma_f32_16x16x32_fp8_fp8 v[64:67], a[60:61], a[28:29], v[64:67]// 000000003DEC: D3F30040 1D02393C
	v_mfma_f32_16x16x32_fp8_fp8 v[64:67], a[62:63], a[30:31], v[64:67]// 000000003DF4: D3F30040 1D023D3E
	s_waitcnt vmcnt(16)                                        // 000000003DFC: BF8C4F70
	v_pk_mul_f32 v[4:5], v[132:133], v[4:5]                    // 000000003E00: D3B14004 18020984
	v_pk_mul_f32 v[6:7], v[132:133], v[6:7]                    // 000000003E08: D3B14006 18020D84
	v_mul_f32_dpp v4, v140, v4 row_newbcast:0 row_mask:0xf bank_mask:0xf// 000000003E10: 0A0808FA FF01508C
	v_mul_f32_dpp v5, v140, v5 row_newbcast:1 row_mask:0xf bank_mask:0xf// 000000003E18: 0A0A0AFA FF01518C
	v_mul_f32_dpp v6, v140, v6 row_newbcast:2 row_mask:0xf bank_mask:0xf// 000000003E20: 0A0C0CFA FF01528C
	v_mul_f32_dpp v7, v140, v7 row_newbcast:3 row_mask:0xf bank_mask:0xf// 000000003E28: 0A0E0EFA FF01538C
	v_pk_mul_f32 v[8:9], v[132:133], v[8:9]                    // 000000003E30: D3B14008 18021184
	v_pk_mul_f32 v[10:11], v[132:133], v[10:11]                // 000000003E38: D3B1400A 18021584
	v_mul_f32_dpp v8, v140, v8 row_newbcast:4 row_mask:0xf bank_mask:0xf// 000000003E40: 0A1010FA FF01548C
	v_mul_f32_dpp v9, v140, v9 row_newbcast:5 row_mask:0xf bank_mask:0xf// 000000003E48: 0A1212FA FF01558C
	v_mul_f32_dpp v10, v140, v10 row_newbcast:6 row_mask:0xf bank_mask:0xf// 000000003E50: 0A1414FA FF01568C
	v_mul_f32_dpp v11, v140, v11 row_newbcast:7 row_mask:0xf bank_mask:0xf// 000000003E58: 0A1616FA FF01578C
	v_pk_mul_f32 v[12:13], v[132:133], v[12:13]                // 000000003E60: D3B1400C 18021984
	v_pk_mul_f32 v[14:15], v[132:133], v[14:15]                // 000000003E68: D3B1400E 18021D84
	v_mul_f32_dpp v12, v140, v12 row_newbcast:8 row_mask:0xf bank_mask:0xf// 000000003E70: 0A1818FA FF01588C
	v_mul_f32_dpp v13, v140, v13 row_newbcast:9 row_mask:0xf bank_mask:0xf// 000000003E78: 0A1A1AFA FF01598C
	v_mul_f32_dpp v14, v140, v14 row_newbcast:10 row_mask:0xf bank_mask:0xf// 000000003E80: 0A1C1CFA FF015A8C
	v_mul_f32_dpp v15, v140, v15 row_newbcast:11 row_mask:0xf bank_mask:0xf// 000000003E88: 0A1E1EFA FF015B8C
	v_pk_mul_f32 v[16:17], v[132:133], v[16:17]                // 000000003E90: D3B14010 18022184
	v_pk_mul_f32 v[18:19], v[132:133], v[18:19]                // 000000003E98: D3B14012 18022584
	v_mul_f32_dpp v16, v140, v16 row_newbcast:12 row_mask:0xf bank_mask:0xf// 000000003EA0: 0A2020FA FF015C8C
	v_mul_f32_dpp v17, v140, v17 row_newbcast:13 row_mask:0xf bank_mask:0xf// 000000003EA8: 0A2222FA FF015D8C
	v_mul_f32_dpp v18, v140, v18 row_newbcast:14 row_mask:0xf bank_mask:0xf// 000000003EB0: 0A2424FA FF015E8C
	v_mul_f32_dpp v19, v140, v19 row_newbcast:15 row_mask:0xf bank_mask:0xf// 000000003EB8: 0A2626FA FF015F8C
	v_pk_mul_f32 v[20:21], v[134:135], v[20:21]                // 000000003EC0: D3B14014 18022986
	v_pk_mul_f32 v[22:23], v[134:135], v[22:23]                // 000000003EC8: D3B14016 18022D86
	v_mul_f32_dpp v20, v140, v20 row_newbcast:0 row_mask:0xf bank_mask:0xf// 000000003ED0: 0A2828FA FF01508C
	v_mul_f32_dpp v21, v140, v21 row_newbcast:1 row_mask:0xf bank_mask:0xf// 000000003ED8: 0A2A2AFA FF01518C
	v_mul_f32_dpp v22, v140, v22 row_newbcast:2 row_mask:0xf bank_mask:0xf// 000000003EE0: 0A2C2CFA FF01528C
	v_mul_f32_dpp v23, v140, v23 row_newbcast:3 row_mask:0xf bank_mask:0xf// 000000003EE8: 0A2E2EFA FF01538C
	v_pk_mul_f32 v[24:25], v[134:135], v[24:25]                // 000000003EF0: D3B14018 18023186
	v_pk_mul_f32 v[26:27], v[134:135], v[26:27]                // 000000003EF8: D3B1401A 18023586
	v_mul_f32_dpp v24, v140, v24 row_newbcast:4 row_mask:0xf bank_mask:0xf// 000000003F00: 0A3030FA FF01548C
	v_mul_f32_dpp v25, v140, v25 row_newbcast:5 row_mask:0xf bank_mask:0xf// 000000003F08: 0A3232FA FF01558C
	v_mul_f32_dpp v26, v140, v26 row_newbcast:6 row_mask:0xf bank_mask:0xf// 000000003F10: 0A3434FA FF01568C
	v_mul_f32_dpp v27, v140, v27 row_newbcast:7 row_mask:0xf bank_mask:0xf// 000000003F18: 0A3636FA FF01578C
	v_pk_mul_f32 v[28:29], v[134:135], v[28:29]                // 000000003F20: D3B1401C 18023986
	v_pk_mul_f32 v[30:31], v[134:135], v[30:31]                // 000000003F28: D3B1401E 18023D86
	v_mul_f32_dpp v28, v140, v28 row_newbcast:8 row_mask:0xf bank_mask:0xf// 000000003F30: 0A3838FA FF01588C
	v_mul_f32_dpp v29, v140, v29 row_newbcast:9 row_mask:0xf bank_mask:0xf// 000000003F38: 0A3A3AFA FF01598C
	v_mul_f32_dpp v30, v140, v30 row_newbcast:10 row_mask:0xf bank_mask:0xf// 000000003F40: 0A3C3CFA FF015A8C
	v_mul_f32_dpp v31, v140, v31 row_newbcast:11 row_mask:0xf bank_mask:0xf// 000000003F48: 0A3E3EFA FF015B8C
	v_pk_mul_f32 v[32:33], v[134:135], v[32:33]                // 000000003F50: D3B14020 18024186
	v_pk_mul_f32 v[34:35], v[134:135], v[34:35]                // 000000003F58: D3B14022 18024586
	v_mul_f32_dpp v32, v140, v32 row_newbcast:12 row_mask:0xf bank_mask:0xf// 000000003F60: 0A4040FA FF015C8C
	v_mul_f32_dpp v33, v140, v33 row_newbcast:13 row_mask:0xf bank_mask:0xf// 000000003F68: 0A4242FA FF015D8C
	v_mul_f32_dpp v34, v140, v34 row_newbcast:14 row_mask:0xf bank_mask:0xf// 000000003F70: 0A4444FA FF015E8C
	v_mul_f32_dpp v35, v140, v35 row_newbcast:15 row_mask:0xf bank_mask:0xf// 000000003F78: 0A4646FA FF015F8C
	v_pk_mul_f32 v[36:37], v[136:137], v[36:37]                // 000000003F80: D3B14024 18024988
	v_pk_mul_f32 v[38:39], v[136:137], v[38:39]                // 000000003F88: D3B14026 18024D88
	v_mul_f32_dpp v36, v140, v36 row_newbcast:0 row_mask:0xf bank_mask:0xf// 000000003F90: 0A4848FA FF01508C
	v_mul_f32_dpp v37, v140, v37 row_newbcast:1 row_mask:0xf bank_mask:0xf// 000000003F98: 0A4A4AFA FF01518C
	v_mul_f32_dpp v38, v140, v38 row_newbcast:2 row_mask:0xf bank_mask:0xf// 000000003FA0: 0A4C4CFA FF01528C
	v_mul_f32_dpp v39, v140, v39 row_newbcast:3 row_mask:0xf bank_mask:0xf// 000000003FA8: 0A4E4EFA FF01538C
	v_pk_mul_f32 v[40:41], v[136:137], v[40:41]                // 000000003FB0: D3B14028 18025188
	v_pk_mul_f32 v[42:43], v[136:137], v[42:43]                // 000000003FB8: D3B1402A 18025588
	v_mul_f32_dpp v40, v140, v40 row_newbcast:4 row_mask:0xf bank_mask:0xf// 000000003FC0: 0A5050FA FF01548C
	v_mul_f32_dpp v41, v140, v41 row_newbcast:5 row_mask:0xf bank_mask:0xf// 000000003FC8: 0A5252FA FF01558C
	v_mul_f32_dpp v42, v140, v42 row_newbcast:6 row_mask:0xf bank_mask:0xf// 000000003FD0: 0A5454FA FF01568C
	v_mul_f32_dpp v43, v140, v43 row_newbcast:7 row_mask:0xf bank_mask:0xf// 000000003FD8: 0A5656FA FF01578C
	v_pk_mul_f32 v[44:45], v[136:137], v[44:45]                // 000000003FE0: D3B1402C 18025988
	v_pk_mul_f32 v[46:47], v[136:137], v[46:47]                // 000000003FE8: D3B1402E 18025D88
	v_mul_f32_dpp v44, v140, v44 row_newbcast:8 row_mask:0xf bank_mask:0xf// 000000003FF0: 0A5858FA FF01588C
	v_mul_f32_dpp v45, v140, v45 row_newbcast:9 row_mask:0xf bank_mask:0xf// 000000003FF8: 0A5A5AFA FF01598C
	v_mul_f32_dpp v46, v140, v46 row_newbcast:10 row_mask:0xf bank_mask:0xf// 000000004000: 0A5C5CFA FF015A8C
	v_mul_f32_dpp v47, v140, v47 row_newbcast:11 row_mask:0xf bank_mask:0xf// 000000004008: 0A5E5EFA FF015B8C
	v_pk_mul_f32 v[48:49], v[136:137], v[48:49]                // 000000004010: D3B14030 18026188
	v_pk_mul_f32 v[50:51], v[136:137], v[50:51]                // 000000004018: D3B14032 18026588
	v_mul_f32_dpp v48, v140, v48 row_newbcast:12 row_mask:0xf bank_mask:0xf// 000000004020: 0A6060FA FF015C8C
	v_mul_f32_dpp v49, v140, v49 row_newbcast:13 row_mask:0xf bank_mask:0xf// 000000004028: 0A6262FA FF015D8C
	v_mul_f32_dpp v50, v140, v50 row_newbcast:14 row_mask:0xf bank_mask:0xf// 000000004030: 0A6464FA FF015E8C
	v_mul_f32_dpp v51, v140, v51 row_newbcast:15 row_mask:0xf bank_mask:0xf// 000000004038: 0A6666FA FF015F8C
	v_pk_mul_f32 v[52:53], v[138:139], v[52:53]                // 000000004040: D3B14034 1802698A
	v_pk_mul_f32 v[54:55], v[138:139], v[54:55]                // 000000004048: D3B14036 18026D8A
	v_mul_f32_dpp v52, v140, v52 row_newbcast:0 row_mask:0xf bank_mask:0xf// 000000004050: 0A6868FA FF01508C
	v_mul_f32_dpp v53, v140, v53 row_newbcast:1 row_mask:0xf bank_mask:0xf// 000000004058: 0A6A6AFA FF01518C
	v_mul_f32_dpp v54, v140, v54 row_newbcast:2 row_mask:0xf bank_mask:0xf// 000000004060: 0A6C6CFA FF01528C
	v_mul_f32_dpp v55, v140, v55 row_newbcast:3 row_mask:0xf bank_mask:0xf// 000000004068: 0A6E6EFA FF01538C
	v_pk_mul_f32 v[56:57], v[138:139], v[56:57]                // 000000004070: D3B14038 1802718A
	v_pk_mul_f32 v[58:59], v[138:139], v[58:59]                // 000000004078: D3B1403A 1802758A
	v_mul_f32_dpp v56, v140, v56 row_newbcast:4 row_mask:0xf bank_mask:0xf// 000000004080: 0A7070FA FF01548C
	v_mul_f32_dpp v57, v140, v57 row_newbcast:5 row_mask:0xf bank_mask:0xf// 000000004088: 0A7272FA FF01558C
	v_mul_f32_dpp v58, v140, v58 row_newbcast:6 row_mask:0xf bank_mask:0xf// 000000004090: 0A7474FA FF01568C
	v_mul_f32_dpp v59, v140, v59 row_newbcast:7 row_mask:0xf bank_mask:0xf// 000000004098: 0A7676FA FF01578C
	v_pk_mul_f32 v[60:61], v[138:139], v[60:61]                // 0000000040A0: D3B1403C 1802798A
	v_pk_mul_f32 v[62:63], v[138:139], v[62:63]                // 0000000040A8: D3B1403E 18027D8A
	v_mul_f32_dpp v60, v140, v60 row_newbcast:8 row_mask:0xf bank_mask:0xf// 0000000040B0: 0A7878FA FF01588C
	v_mul_f32_dpp v61, v140, v61 row_newbcast:9 row_mask:0xf bank_mask:0xf// 0000000040B8: 0A7A7AFA FF01598C
	v_mul_f32_dpp v62, v140, v62 row_newbcast:10 row_mask:0xf bank_mask:0xf// 0000000040C0: 0A7C7CFA FF015A8C
	v_mul_f32_dpp v63, v140, v63 row_newbcast:11 row_mask:0xf bank_mask:0xf// 0000000040C8: 0A7E7EFA FF015B8C
	v_pk_mul_f32 v[64:65], v[138:139], v[64:65]                // 0000000040D0: D3B14040 1802818A
	v_pk_mul_f32 v[66:67], v[138:139], v[66:67]                // 0000000040D8: D3B14042 1802858A
	v_mul_f32_dpp v64, v140, v64 row_newbcast:12 row_mask:0xf bank_mask:0xf// 0000000040E0: 0A8080FA FF015C8C
	v_mul_f32_dpp v65, v140, v65 row_newbcast:13 row_mask:0xf bank_mask:0xf// 0000000040E8: 0A8282FA FF015D8C
	v_mul_f32_dpp v66, v140, v66 row_newbcast:14 row_mask:0xf bank_mask:0xf// 0000000040F0: 0A8484FA FF015E8C
	v_mul_f32_dpp v67, v140, v67 row_newbcast:15 row_mask:0xf bank_mask:0xf// 0000000040F8: 0A8686FA FF015F8C
	v_mov_b32_e32 v176, v4                                     // 000000004100: 7F600304
	v_max3_f32 v176, v4, v5, v176                              // 000000004104: D1D300B0 06C20B04
	v_max3_f32 v176, v6, v7, v176                              // 00000000410C: D1D300B0 06C20F06
	v_max3_f32 v176, v8, v9, v176                              // 000000004114: D1D300B0 06C21308
	v_max3_f32 v176, v10, v11, v176                            // 00000000411C: D1D300B0 06C2170A
	v_max3_f32 v176, v12, v13, v176                            // 000000004124: D1D300B0 06C21B0C
	v_max3_f32 v176, v14, v15, v176                            // 00000000412C: D1D300B0 06C21F0E
	v_max3_f32 v176, v16, v17, v176                            // 000000004134: D1D300B0 06C22310
	v_max3_f32 v176, v18, v19, v176                            // 00000000413C: D1D300B0 06C22712
	v_mov_b32_e32 v177, v20                                    // 000000004144: 7F620314
	v_max3_f32 v177, v20, v21, v177                            // 000000004148: D1D300B1 06C62B14
	v_max3_f32 v177, v22, v23, v177                            // 000000004150: D1D300B1 06C62F16
	v_max3_f32 v177, v24, v25, v177                            // 000000004158: D1D300B1 06C63318
	v_max3_f32 v177, v26, v27, v177                            // 000000004160: D1D300B1 06C6371A
	v_max3_f32 v177, v28, v29, v177                            // 000000004168: D1D300B1 06C63B1C
	v_max3_f32 v177, v30, v31, v177                            // 000000004170: D1D300B1 06C63F1E
	v_max3_f32 v177, v32, v33, v177                            // 000000004178: D1D300B1 06C64320
	v_max3_f32 v177, v34, v35, v177                            // 000000004180: D1D300B1 06C64722
	v_mov_b32_e32 v178, v36                                    // 000000004188: 7F640324
	v_max3_f32 v178, v36, v37, v178                            // 00000000418C: D1D300B2 06CA4B24
	v_max3_f32 v178, v38, v39, v178                            // 000000004194: D1D300B2 06CA4F26
	v_max3_f32 v178, v40, v41, v178                            // 00000000419C: D1D300B2 06CA5328
	v_max3_f32 v178, v42, v43, v178                            // 0000000041A4: D1D300B2 06CA572A
	v_max3_f32 v178, v44, v45, v178                            // 0000000041AC: D1D300B2 06CA5B2C
	v_max3_f32 v178, v46, v47, v178                            // 0000000041B4: D1D300B2 06CA5F2E
	v_max3_f32 v178, v48, v49, v178                            // 0000000041BC: D1D300B2 06CA6330
	v_max3_f32 v178, v50, v51, v178                            // 0000000041C4: D1D300B2 06CA6732
	v_mov_b32_e32 v179, v52                                    // 0000000041CC: 7F660334
	v_max3_f32 v179, v52, v53, v179                            // 0000000041D0: D1D300B3 06CE6B34
	v_max3_f32 v179, v54, v55, v179                            // 0000000041D8: D1D300B3 06CE6F36
	v_max3_f32 v179, v56, v57, v179                            // 0000000041E0: D1D300B3 06CE7338
	v_max3_f32 v179, v58, v59, v179                            // 0000000041E8: D1D300B3 06CE773A
	v_max3_f32 v179, v60, v61, v179                            // 0000000041F0: D1D300B3 06CE7B3C
	v_max3_f32 v179, v62, v63, v179                            // 0000000041F8: D1D300B3 06CE7F3E
	v_max3_f32 v179, v64, v65, v179                            // 000000004200: D1D300B3 06CE8340
	v_max3_f32 v179, v66, v67, v179                            // 000000004208: D1D300B3 06CE8742
	ds_bpermute_b32 v180, v200, v176                           // 000000004210: D87E0000 B400B0C8
	ds_bpermute_b32 v181, v201, v176                           // 000000004218: D87E0000 B500B0C9
	ds_bpermute_b32 v182, v202, v176                           // 000000004220: D87E0000 B600B0CA
	ds_bpermute_b32 v183, v200, v177                           // 000000004228: D87E0000 B700B1C8
	ds_bpermute_b32 v184, v201, v177                           // 000000004230: D87E0000 B800B1C9
	ds_bpermute_b32 v185, v202, v177                           // 000000004238: D87E0000 B900B1CA
	ds_bpermute_b32 v186, v200, v178                           // 000000004240: D87E0000 BA00B2C8
	ds_bpermute_b32 v187, v201, v178                           // 000000004248: D87E0000 BB00B2C9
	ds_bpermute_b32 v188, v202, v178                           // 000000004250: D87E0000 BC00B2CA
	ds_bpermute_b32 v189, v200, v179                           // 000000004258: D87E0000 BD00B3C8
	ds_bpermute_b32 v190, v201, v179                           // 000000004260: D87E0000 BE00B3C9
	ds_bpermute_b32 v191, v202, v179                           // 000000004268: D87E0000 BF00B3CA
	v_pk_mul_f32 v[100:101], v[160:161], v[100:101]            // 000000004270: D3B14064 1802C9A0
	v_pk_mul_f32 v[102:103], v[160:161], v[102:103]            // 000000004278: D3B14066 1802CDA0
	v_pk_mul_f32 v[104:105], v[160:161], v[104:105]            // 000000004280: D3B14068 1802D1A0
	v_pk_mul_f32 v[106:107], v[160:161], v[106:107]            // 000000004288: D3B1406A 1802D5A0
	v_pk_mul_f32 v[108:109], v[162:163], v[108:109]            // 000000004290: D3B1406C 1802D9A2
	v_pk_mul_f32 v[110:111], v[162:163], v[110:111]            // 000000004298: D3B1406E 1802DDA2
	v_pk_mul_f32 v[112:113], v[162:163], v[112:113]            // 0000000042A0: D3B14070 1802E1A2
	v_pk_mul_f32 v[114:115], v[162:163], v[114:115]            // 0000000042A8: D3B14072 1802E5A2
	v_pk_mul_f32 v[116:117], v[164:165], v[116:117]            // 0000000042B0: D3B14074 1802E9A4
	v_pk_mul_f32 v[118:119], v[164:165], v[118:119]            // 0000000042B8: D3B14076 1802EDA4
	v_pk_mul_f32 v[120:121], v[164:165], v[120:121]            // 0000000042C0: D3B14078 1802F1A4
	v_pk_mul_f32 v[122:123], v[164:165], v[122:123]            // 0000000042C8: D3B1407A 1802F5A4
	v_pk_mul_f32 v[124:125], v[166:167], v[124:125]            // 0000000042D0: D3B1407C 1802F9A6
	v_pk_mul_f32 v[126:127], v[166:167], v[126:127]            // 0000000042D8: D3B1407E 1802FDA6
	v_pk_mul_f32 v[128:129], v[166:167], v[128:129]            // 0000000042E0: D3B14080 180301A6
	v_pk_mul_f32 v[130:131], v[166:167], v[130:131]            // 0000000042E8: D3B14082 180305A6
	s_waitcnt lgkmcnt(9)                                       // 0000000042F0: BF8CC97F
	v_max3_f32 v176, v180, v181, v176                          // 0000000042F4: D1D300B0 06C36BB4
	v_max_f32_e32 v176, v182, v176                             // 0000000042FC: 176161B6
	s_waitcnt lgkmcnt(6)                                       // 000000004300: BF8CC67F
	v_max3_f32 v177, v183, v184, v177                          // 000000004304: D1D300B1 06C771B7
	v_max_f32_e32 v177, v185, v177                             // 00000000430C: 176363B9
	s_waitcnt lgkmcnt(3)                                       // 000000004310: BF8CC37F
	v_max3_f32 v178, v186, v187, v178                          // 000000004314: D1D300B2 06CB77BA
	v_max_f32_e32 v178, v188, v178                             // 00000000431C: 176565BC
	s_waitcnt lgkmcnt(0)                                       // 000000004320: BF8CC07F
	v_max3_f32 v179, v189, v190, v179                          // 000000004324: D1D300B3 06CF7DBD
	v_max_f32_e32 v179, v191, v179                             // 00000000432C: 176767BF
	ds_write_b128 v247, v[176:179]                             // 000000004330: D9BE0000 0000B0F7
	s_waitcnt lgkmcnt(0)                                       // 000000004338: BF8CC07F
	s_barrier                                                  // 00000000433C: BF8A0000
	ds_read_b128 v[180:183], v248                              // 000000004340: D9FE0000 B40000F8
	ds_read_b128 v[184:187], v248 offset:256                   // 000000004348: D9FE0100 B80000F8
	ds_read_b128 v[188:191], v248 offset:512                   // 000000004350: D9FE0200 BC0000F8
	ds_read_b128 v[192:195], v248 offset:768                   // 000000004358: D9FE0300 C00000F8
	v_pk_mul_f32 v[68:69], v[144:145], v[68:69]                // 000000004360: D3B14044 18028990
	v_pk_mul_f32 v[70:71], v[144:145], v[70:71]                // 000000004368: D3B14046 18028D90
	v_pk_mul_f32 v[72:73], v[144:145], v[72:73]                // 000000004370: D3B14048 18029190
	v_pk_mul_f32 v[74:75], v[144:145], v[74:75]                // 000000004378: D3B1404A 18029590
	v_pk_mul_f32 v[76:77], v[146:147], v[76:77]                // 000000004380: D3B1404C 18029992
	v_pk_mul_f32 v[78:79], v[146:147], v[78:79]                // 000000004388: D3B1404E 18029D92
	v_pk_mul_f32 v[80:81], v[146:147], v[80:81]                // 000000004390: D3B14050 1802A192
	v_pk_mul_f32 v[82:83], v[146:147], v[82:83]                // 000000004398: D3B14052 1802A592
	v_pk_mul_f32 v[84:85], v[148:149], v[84:85]                // 0000000043A0: D3B14054 1802A994
	v_pk_mul_f32 v[86:87], v[148:149], v[86:87]                // 0000000043A8: D3B14056 1802AD94
	v_pk_mul_f32 v[88:89], v[148:149], v[88:89]                // 0000000043B0: D3B14058 1802B194
	v_pk_mul_f32 v[90:91], v[148:149], v[90:91]                // 0000000043B8: D3B1405A 1802B594
	v_pk_mul_f32 v[92:93], v[150:151], v[92:93]                // 0000000043C0: D3B1405C 1802B996
	v_pk_mul_f32 v[94:95], v[150:151], v[94:95]                // 0000000043C8: D3B1405E 1802BD96
	v_pk_mul_f32 v[96:97], v[150:151], v[96:97]                // 0000000043D0: D3B14060 1802C196
	v_pk_mul_f32 v[98:99], v[150:151], v[98:99]                // 0000000043D8: D3B14062 1802C596
	s_waitcnt lgkmcnt(0)                                       // 0000000043E0: BF8CC07F
	v_max3_f32 v176, v180, v184, v176                          // 0000000043E4: D1D300B0 06C371B4
	v_max3_f32 v177, v181, v185, v177                          // 0000000043EC: D1D300B1 06C773B5
	v_max3_f32 v178, v182, v186, v178                          // 0000000043F4: D1D300B2 06CB75B6
	v_max3_f32 v179, v183, v187, v179                          // 0000000043FC: D1D300B3 06CF77B7
	v_max3_f32 v176, v188, v192, v176                          // 000000004404: D1D300B0 06C381BC
	v_max3_f32 v177, v189, v193, v177                          // 00000000440C: D1D300B1 06C783BD
	v_max3_f32 v178, v190, v194, v178                          // 000000004414: D1D300B2 06CB85BE
	v_max3_f32 v179, v191, v195, v179                          // 00000000441C: D1D300B3 06CF87BF
	v_max_f32_e32 v156, v176, v152                             // 000000004424: 173931B0
	v_mul_f32_e64 v196, -s46, v156                             // 000000004428: D10500C4 2003382E
	v_mov_b32_e32 v197, v196                                   // 000000004430: 7F8A03C4
	v_pk_fma_f32 v[4:5], v[4:5], s[46:47], v[196:197]          // 000000004434: D3B04004 1F105D04
	v_pk_fma_f32 v[6:7], v[6:7], s[46:47], v[196:197]          // 00000000443C: D3B04006 1F105D06
	v_exp_f32_e32 v4, v4                                       // 000000004444: 7E084104
	v_exp_f32_e32 v5, v5                                       // 000000004448: 7E0A4105
	v_exp_f32_e32 v6, v6                                       // 00000000444C: 7E0C4106
	v_exp_f32_e32 v7, v7                                       // 000000004450: 7E0E4107
	v_pk_fma_f32 v[8:9], v[8:9], s[46:47], v[196:197]          // 000000004454: D3B04008 1F105D08
	v_pk_fma_f32 v[10:11], v[10:11], s[46:47], v[196:197]      // 00000000445C: D3B0400A 1F105D0A
	v_exp_f32_e32 v8, v8                                       // 000000004464: 7E104108
	v_exp_f32_e32 v9, v9                                       // 000000004468: 7E124109
	v_exp_f32_e32 v10, v10                                     // 00000000446C: 7E14410A
	v_exp_f32_e32 v11, v11                                     // 000000004470: 7E16410B
	v_pk_fma_f32 v[12:13], v[12:13], s[46:47], v[196:197]      // 000000004474: D3B0400C 1F105D0C
	v_pk_fma_f32 v[14:15], v[14:15], s[46:47], v[196:197]      // 00000000447C: D3B0400E 1F105D0E
	v_exp_f32_e32 v12, v12                                     // 000000004484: 7E18410C
	v_exp_f32_e32 v13, v13                                     // 000000004488: 7E1A410D
	v_exp_f32_e32 v14, v14                                     // 00000000448C: 7E1C410E
	v_exp_f32_e32 v15, v15                                     // 000000004490: 7E1E410F
	v_pk_fma_f32 v[16:17], v[16:17], s[46:47], v[196:197]      // 000000004494: D3B04010 1F105D10
	v_pk_fma_f32 v[18:19], v[18:19], s[46:47], v[196:197]      // 00000000449C: D3B04012 1F105D12
	v_exp_f32_e32 v16, v16                                     // 0000000044A4: 7E204110
	v_exp_f32_e32 v17, v17                                     // 0000000044A8: 7E224111
	v_exp_f32_e32 v18, v18                                     // 0000000044AC: 7E244112
	v_exp_f32_e32 v19, v19                                     // 0000000044B0: 7E264113
	v_max_f32_e32 v157, v177, v153                             // 0000000044B4: 173B33B1
	v_mul_f32_e64 v196, -s46, v157                             // 0000000044B8: D10500C4 20033A2E
	v_mov_b32_e32 v197, v196                                   // 0000000044C0: 7F8A03C4
	v_pk_fma_f32 v[20:21], v[20:21], s[46:47], v[196:197]      // 0000000044C4: D3B04014 1F105D14
	v_pk_fma_f32 v[22:23], v[22:23], s[46:47], v[196:197]      // 0000000044CC: D3B04016 1F105D16
	v_exp_f32_e32 v20, v20                                     // 0000000044D4: 7E284114
	v_exp_f32_e32 v21, v21                                     // 0000000044D8: 7E2A4115
	v_exp_f32_e32 v22, v22                                     // 0000000044DC: 7E2C4116
	v_exp_f32_e32 v23, v23                                     // 0000000044E0: 7E2E4117
	v_pk_fma_f32 v[24:25], v[24:25], s[46:47], v[196:197]      // 0000000044E4: D3B04018 1F105D18
	v_pk_fma_f32 v[26:27], v[26:27], s[46:47], v[196:197]      // 0000000044EC: D3B0401A 1F105D1A
	v_exp_f32_e32 v24, v24                                     // 0000000044F4: 7E304118
	v_exp_f32_e32 v25, v25                                     // 0000000044F8: 7E324119
	v_exp_f32_e32 v26, v26                                     // 0000000044FC: 7E34411A
	v_exp_f32_e32 v27, v27                                     // 000000004500: 7E36411B
	v_pk_fma_f32 v[28:29], v[28:29], s[46:47], v[196:197]      // 000000004504: D3B0401C 1F105D1C
	v_pk_fma_f32 v[30:31], v[30:31], s[46:47], v[196:197]      // 00000000450C: D3B0401E 1F105D1E
	v_exp_f32_e32 v28, v28                                     // 000000004514: 7E38411C
	v_exp_f32_e32 v29, v29                                     // 000000004518: 7E3A411D
	v_exp_f32_e32 v30, v30                                     // 00000000451C: 7E3C411E
	v_exp_f32_e32 v31, v31                                     // 000000004520: 7E3E411F
	v_pk_fma_f32 v[32:33], v[32:33], s[46:47], v[196:197]      // 000000004524: D3B04020 1F105D20
	v_pk_fma_f32 v[34:35], v[34:35], s[46:47], v[196:197]      // 00000000452C: D3B04022 1F105D22
	v_exp_f32_e32 v32, v32                                     // 000000004534: 7E404120
	v_exp_f32_e32 v33, v33                                     // 000000004538: 7E424121
	v_exp_f32_e32 v34, v34                                     // 00000000453C: 7E444122
	v_exp_f32_e32 v35, v35                                     // 000000004540: 7E464123
	v_max_f32_e32 v158, v178, v154                             // 000000004544: 173D35B2
	v_mul_f32_e64 v196, -s46, v158                             // 000000004548: D10500C4 20033C2E
	v_mov_b32_e32 v197, v196                                   // 000000004550: 7F8A03C4
	v_pk_fma_f32 v[36:37], v[36:37], s[46:47], v[196:197]      // 000000004554: D3B04024 1F105D24
	v_pk_fma_f32 v[38:39], v[38:39], s[46:47], v[196:197]      // 00000000455C: D3B04026 1F105D26
	v_exp_f32_e32 v36, v36                                     // 000000004564: 7E484124
	v_exp_f32_e32 v37, v37                                     // 000000004568: 7E4A4125
	v_exp_f32_e32 v38, v38                                     // 00000000456C: 7E4C4126
	v_exp_f32_e32 v39, v39                                     // 000000004570: 7E4E4127
	v_pk_fma_f32 v[40:41], v[40:41], s[46:47], v[196:197]      // 000000004574: D3B04028 1F105D28
	v_pk_fma_f32 v[42:43], v[42:43], s[46:47], v[196:197]      // 00000000457C: D3B0402A 1F105D2A
	v_exp_f32_e32 v40, v40                                     // 000000004584: 7E504128
	v_exp_f32_e32 v41, v41                                     // 000000004588: 7E524129
	v_exp_f32_e32 v42, v42                                     // 00000000458C: 7E54412A
	v_exp_f32_e32 v43, v43                                     // 000000004590: 7E56412B
	v_pk_fma_f32 v[44:45], v[44:45], s[46:47], v[196:197]      // 000000004594: D3B0402C 1F105D2C
	v_pk_fma_f32 v[46:47], v[46:47], s[46:47], v[196:197]      // 00000000459C: D3B0402E 1F105D2E
	v_exp_f32_e32 v44, v44                                     // 0000000045A4: 7E58412C
	v_exp_f32_e32 v45, v45                                     // 0000000045A8: 7E5A412D
	v_exp_f32_e32 v46, v46                                     // 0000000045AC: 7E5C412E
	v_exp_f32_e32 v47, v47                                     // 0000000045B0: 7E5E412F
	v_pk_fma_f32 v[48:49], v[48:49], s[46:47], v[196:197]      // 0000000045B4: D3B04030 1F105D30
	v_pk_fma_f32 v[50:51], v[50:51], s[46:47], v[196:197]      // 0000000045BC: D3B04032 1F105D32
	v_exp_f32_e32 v48, v48                                     // 0000000045C4: 7E604130
	v_exp_f32_e32 v49, v49                                     // 0000000045C8: 7E624131
	v_exp_f32_e32 v50, v50                                     // 0000000045CC: 7E644132
	v_exp_f32_e32 v51, v51                                     // 0000000045D0: 7E664133
	v_max_f32_e32 v159, v179, v155                             // 0000000045D4: 173F37B3
	v_mul_f32_e64 v196, -s46, v159                             // 0000000045D8: D10500C4 20033E2E
	v_mov_b32_e32 v197, v196                                   // 0000000045E0: 7F8A03C4
	v_pk_fma_f32 v[52:53], v[52:53], s[46:47], v[196:197]      // 0000000045E4: D3B04034 1F105D34
	v_pk_fma_f32 v[54:55], v[54:55], s[46:47], v[196:197]      // 0000000045EC: D3B04036 1F105D36
	v_exp_f32_e32 v52, v52                                     // 0000000045F4: 7E684134
	v_exp_f32_e32 v53, v53                                     // 0000000045F8: 7E6A4135
	v_exp_f32_e32 v54, v54                                     // 0000000045FC: 7E6C4136
	v_exp_f32_e32 v55, v55                                     // 000000004600: 7E6E4137
	v_pk_fma_f32 v[56:57], v[56:57], s[46:47], v[196:197]      // 000000004604: D3B04038 1F105D38
	v_pk_fma_f32 v[58:59], v[58:59], s[46:47], v[196:197]      // 00000000460C: D3B0403A 1F105D3A
	v_exp_f32_e32 v56, v56                                     // 000000004614: 7E704138
	v_exp_f32_e32 v57, v57                                     // 000000004618: 7E724139
	v_exp_f32_e32 v58, v58                                     // 00000000461C: 7E74413A
	v_exp_f32_e32 v59, v59                                     // 000000004620: 7E76413B
	v_pk_fma_f32 v[60:61], v[60:61], s[46:47], v[196:197]      // 000000004624: D3B0403C 1F105D3C
	v_pk_fma_f32 v[62:63], v[62:63], s[46:47], v[196:197]      // 00000000462C: D3B0403E 1F105D3E
	v_exp_f32_e32 v60, v60                                     // 000000004634: 7E78413C
	v_exp_f32_e32 v61, v61                                     // 000000004638: 7E7A413D
	v_exp_f32_e32 v62, v62                                     // 00000000463C: 7E7C413E
	v_exp_f32_e32 v63, v63                                     // 000000004640: 7E7E413F
	v_pk_fma_f32 v[64:65], v[64:65], s[46:47], v[196:197]      // 000000004644: D3B04040 1F105D40
	v_pk_fma_f32 v[66:67], v[66:67], s[46:47], v[196:197]      // 00000000464C: D3B04042 1F105D42
	v_exp_f32_e32 v64, v64                                     // 000000004654: 7E804140
	v_exp_f32_e32 v65, v65                                     // 000000004658: 7E824141
	v_exp_f32_e32 v66, v66                                     // 00000000465C: 7E844142
	v_exp_f32_e32 v67, v67                                     // 000000004660: 7E864143
	v_sub_f32_e32 v160, v152, v156                             // 000000004664: 05413998
	v_cmp_eq_u32_e64 s[98:99], v216, v152                      // 000000004668: D0CA0062 000331D8
	v_cndmask_b32_e64 v160, v160, 0, s[98:99]                  // 000000004670: D10000A0 018901A0
	v_mov_b32_e32 v152, v156                                   // 000000004678: 7F30039C
	v_mul_f32_e32 v160, s46, v160                              // 00000000467C: 0B41402E
	v_exp_f32_e32 v160, v160                                   // 000000004680: 7F4041A0
	v_sub_f32_e32 v162, v153, v157                             // 000000004684: 05453B99
	v_cmp_eq_u32_e64 s[98:99], v216, v153                      // 000000004688: D0CA0062 000333D8
	v_cndmask_b32_e64 v162, v162, 0, s[98:99]                  // 000000004690: D10000A2 018901A2
	v_mov_b32_e32 v153, v157                                   // 000000004698: 7F32039D
	v_mul_f32_e32 v162, s46, v162                              // 00000000469C: 0B45442E
	v_exp_f32_e32 v162, v162                                   // 0000000046A0: 7F4441A2
	v_sub_f32_e32 v164, v154, v158                             // 0000000046A4: 05493D9A
	v_cmp_eq_u32_e64 s[98:99], v216, v154                      // 0000000046A8: D0CA0062 000335D8
	v_cndmask_b32_e64 v164, v164, 0, s[98:99]                  // 0000000046B0: D10000A4 018901A4
	v_mov_b32_e32 v154, v158                                   // 0000000046B8: 7F34039E
	v_mul_f32_e32 v164, s46, v164                              // 0000000046BC: 0B49482E
	v_exp_f32_e32 v164, v164                                   // 0000000046C0: 7F4841A4
	v_sub_f32_e32 v166, v155, v159                             // 0000000046C4: 054D3F9B
	v_cmp_eq_u32_e64 s[98:99], v216, v155                      // 0000000046C8: D0CA0062 000337D8
	v_cndmask_b32_e64 v166, v166, 0, s[98:99]                  // 0000000046D0: D10000A6 018901A6
	v_mov_b32_e32 v155, v159                                   // 0000000046D8: 7F36039F
	v_mul_f32_e32 v166, s46, v166                              // 0000000046DC: 0B4D4C2E
	v_exp_f32_e32 v166, v166                                   // 0000000046E0: 7F4C41A6
	v_mov_b32_e32 v161, v160                                   // 0000000046E4: 7F4203A0
	v_mov_b32_e32 v163, v162                                   // 0000000046E8: 7F4603A2
	v_mov_b32_e32 v165, v164                                   // 0000000046EC: 7F4A03A4
	v_mov_b32_e32 v167, v166                                   // 0000000046F0: 7F4E03A6
	v_mul_f32_e32 v168, v160, v168                             // 0000000046F4: 0B5151A0
	v_mov_b32_e32 v169, 0                                      // 0000000046F8: 7F520280
	v_pk_add_f32 v[168:169], v[4:5], v[168:169]                // 0000000046FC: D3B240A8 18035104
	v_pk_add_f32 v[168:169], v[6:7], v[168:169]                // 000000004704: D3B240A8 18035106
	v_pk_add_f32 v[168:169], v[8:9], v[168:169]                // 00000000470C: D3B240A8 18035108
	v_pk_add_f32 v[168:169], v[10:11], v[168:169]              // 000000004714: D3B240A8 1803510A
	v_pk_add_f32 v[168:169], v[12:13], v[168:169]              // 00000000471C: D3B240A8 1803510C
	v_pk_add_f32 v[168:169], v[14:15], v[168:169]              // 000000004724: D3B240A8 1803510E
	v_pk_add_f32 v[168:169], v[16:17], v[168:169]              // 00000000472C: D3B240A8 18035110
	v_pk_add_f32 v[168:169], v[18:19], v[168:169]              // 000000004734: D3B240A8 18035112
	v_add_f32_e32 v168, v169, v168                             // 00000000473C: 035151A9
	v_mul_f32_e32 v170, v162, v170                             // 000000004740: 0B5555A2
	v_mov_b32_e32 v171, 0                                      // 000000004744: 7F560280
	v_pk_add_f32 v[170:171], v[20:21], v[170:171]              // 000000004748: D3B240AA 18035514
	v_pk_add_f32 v[170:171], v[22:23], v[170:171]              // 000000004750: D3B240AA 18035516
	;; [unrolled: 1-line block ×3, first 2 shown]
	v_pk_add_f32 v[170:171], v[26:27], v[170:171]              // 000000004760: D3B240AA 1803551A
	v_pk_add_f32 v[170:171], v[28:29], v[170:171]              // 000000004768: D3B240AA 1803551C
	v_pk_add_f32 v[170:171], v[30:31], v[170:171]              // 000000004770: D3B240AA 1803551E
	v_pk_add_f32 v[170:171], v[32:33], v[170:171]              // 000000004778: D3B240AA 18035520
	v_pk_add_f32 v[170:171], v[34:35], v[170:171]              // 000000004780: D3B240AA 18035522
	v_add_f32_e32 v170, v171, v170                             // 000000004788: 035555AB
	v_mul_f32_e32 v172, v164, v172                             // 00000000478C: 0B5959A4
	v_mov_b32_e32 v173, 0                                      // 000000004790: 7F5A0280
	v_pk_add_f32 v[172:173], v[36:37], v[172:173]              // 000000004794: D3B240AC 18035924
	v_pk_add_f32 v[172:173], v[38:39], v[172:173]              // 00000000479C: D3B240AC 18035926
	v_pk_add_f32 v[172:173], v[40:41], v[172:173]              // 0000000047A4: D3B240AC 18035928
	v_pk_add_f32 v[172:173], v[42:43], v[172:173]              // 0000000047AC: D3B240AC 1803592A
	v_pk_add_f32 v[172:173], v[44:45], v[172:173]              // 0000000047B4: D3B240AC 1803592C
	v_pk_add_f32 v[172:173], v[46:47], v[172:173]              // 0000000047BC: D3B240AC 1803592E
	v_pk_add_f32 v[172:173], v[48:49], v[172:173]              // 0000000047C4: D3B240AC 18035930
	v_pk_add_f32 v[172:173], v[50:51], v[172:173]              // 0000000047CC: D3B240AC 18035932
	v_add_f32_e32 v172, v173, v172                             // 0000000047D4: 035959AD
	v_mul_f32_e32 v174, v166, v174                             // 0000000047D8: 0B5D5DA6
	v_mov_b32_e32 v175, 0                                      // 0000000047DC: 7F5E0280
	v_pk_add_f32 v[174:175], v[52:53], v[174:175]              // 0000000047E0: D3B240AE 18035D34
	v_pk_add_f32 v[174:175], v[54:55], v[174:175]              // 0000000047E8: D3B240AE 18035D36
	v_pk_add_f32 v[174:175], v[56:57], v[174:175]              // 0000000047F0: D3B240AE 18035D38
	v_pk_add_f32 v[174:175], v[58:59], v[174:175]              // 0000000047F8: D3B240AE 18035D3A
	v_pk_add_f32 v[174:175], v[60:61], v[174:175]              // 000000004800: D3B240AE 18035D3C
	v_pk_add_f32 v[174:175], v[62:63], v[174:175]              // 000000004808: D3B240AE 18035D3E
	v_pk_add_f32 v[174:175], v[64:65], v[174:175]              // 000000004810: D3B240AE 18035D40
	v_pk_add_f32 v[174:175], v[66:67], v[174:175]              // 000000004818: D3B240AE 18035D42
	v_add_f32_e32 v174, v175, v174                             // 000000004820: 035D5DAF
	v_mul_f32_dpp v4, v142, v4 row_newbcast:0 row_mask:0xf bank_mask:0xf// 000000004824: 0A0808FA FF01508E
	v_mul_f32_dpp v5, v142, v5 row_newbcast:1 row_mask:0xf bank_mask:0xf// 00000000482C: 0A0A0AFA FF01518E
	v_mul_f32_dpp v6, v142, v6 row_newbcast:2 row_mask:0xf bank_mask:0xf// 000000004834: 0A0C0CFA FF01528E
	v_mul_f32_dpp v7, v142, v7 row_newbcast:3 row_mask:0xf bank_mask:0xf// 00000000483C: 0A0E0EFA FF01538E
	v_mul_f32_dpp v8, v142, v8 row_newbcast:4 row_mask:0xf bank_mask:0xf// 000000004844: 0A1010FA FF01548E
	v_mul_f32_dpp v9, v142, v9 row_newbcast:5 row_mask:0xf bank_mask:0xf// 00000000484C: 0A1212FA FF01558E
	v_mul_f32_dpp v10, v142, v10 row_newbcast:6 row_mask:0xf bank_mask:0xf// 000000004854: 0A1414FA FF01568E
	v_mul_f32_dpp v11, v142, v11 row_newbcast:7 row_mask:0xf bank_mask:0xf// 00000000485C: 0A1616FA FF01578E
	v_mul_f32_dpp v12, v142, v12 row_newbcast:8 row_mask:0xf bank_mask:0xf// 000000004864: 0A1818FA FF01588E
	v_mul_f32_dpp v13, v142, v13 row_newbcast:9 row_mask:0xf bank_mask:0xf// 00000000486C: 0A1A1AFA FF01598E
	v_mul_f32_dpp v14, v142, v14 row_newbcast:10 row_mask:0xf bank_mask:0xf// 000000004874: 0A1C1CFA FF015A8E
	v_mul_f32_dpp v15, v142, v15 row_newbcast:11 row_mask:0xf bank_mask:0xf// 00000000487C: 0A1E1EFA FF015B8E
	v_mul_f32_dpp v16, v142, v16 row_newbcast:12 row_mask:0xf bank_mask:0xf// 000000004884: 0A2020FA FF015C8E
	v_mul_f32_dpp v17, v142, v17 row_newbcast:13 row_mask:0xf bank_mask:0xf// 00000000488C: 0A2222FA FF015D8E
	v_mul_f32_dpp v18, v142, v18 row_newbcast:14 row_mask:0xf bank_mask:0xf// 000000004894: 0A2424FA FF015E8E
	v_mul_f32_dpp v19, v142, v19 row_newbcast:15 row_mask:0xf bank_mask:0xf// 00000000489C: 0A2626FA FF015F8E
	v_mul_f32_dpp v20, v142, v20 row_newbcast:0 row_mask:0xf bank_mask:0xf// 0000000048A4: 0A2828FA FF01508E
	v_mul_f32_dpp v21, v142, v21 row_newbcast:1 row_mask:0xf bank_mask:0xf// 0000000048AC: 0A2A2AFA FF01518E
	v_mul_f32_dpp v22, v142, v22 row_newbcast:2 row_mask:0xf bank_mask:0xf// 0000000048B4: 0A2C2CFA FF01528E
	v_mul_f32_dpp v23, v142, v23 row_newbcast:3 row_mask:0xf bank_mask:0xf// 0000000048BC: 0A2E2EFA FF01538E
	v_mul_f32_dpp v24, v142, v24 row_newbcast:4 row_mask:0xf bank_mask:0xf// 0000000048C4: 0A3030FA FF01548E
	v_mul_f32_dpp v25, v142, v25 row_newbcast:5 row_mask:0xf bank_mask:0xf// 0000000048CC: 0A3232FA FF01558E
	v_mul_f32_dpp v26, v142, v26 row_newbcast:6 row_mask:0xf bank_mask:0xf// 0000000048D4: 0A3434FA FF01568E
	v_mul_f32_dpp v27, v142, v27 row_newbcast:7 row_mask:0xf bank_mask:0xf// 0000000048DC: 0A3636FA FF01578E
	v_mul_f32_dpp v28, v142, v28 row_newbcast:8 row_mask:0xf bank_mask:0xf// 0000000048E4: 0A3838FA FF01588E
	v_mul_f32_dpp v29, v142, v29 row_newbcast:9 row_mask:0xf bank_mask:0xf// 0000000048EC: 0A3A3AFA FF01598E
	v_mul_f32_dpp v30, v142, v30 row_newbcast:10 row_mask:0xf bank_mask:0xf// 0000000048F4: 0A3C3CFA FF015A8E
	v_mul_f32_dpp v31, v142, v31 row_newbcast:11 row_mask:0xf bank_mask:0xf// 0000000048FC: 0A3E3EFA FF015B8E
	v_mul_f32_dpp v32, v142, v32 row_newbcast:12 row_mask:0xf bank_mask:0xf// 000000004904: 0A4040FA FF015C8E
	v_mul_f32_dpp v33, v142, v33 row_newbcast:13 row_mask:0xf bank_mask:0xf// 00000000490C: 0A4242FA FF015D8E
	v_mul_f32_dpp v34, v142, v34 row_newbcast:14 row_mask:0xf bank_mask:0xf// 000000004914: 0A4444FA FF015E8E
	v_mul_f32_dpp v35, v142, v35 row_newbcast:15 row_mask:0xf bank_mask:0xf// 00000000491C: 0A4646FA FF015F8E
	v_mul_f32_dpp v36, v142, v36 row_newbcast:0 row_mask:0xf bank_mask:0xf// 000000004924: 0A4848FA FF01508E
	v_mul_f32_dpp v37, v142, v37 row_newbcast:1 row_mask:0xf bank_mask:0xf// 00000000492C: 0A4A4AFA FF01518E
	v_mul_f32_dpp v38, v142, v38 row_newbcast:2 row_mask:0xf bank_mask:0xf// 000000004934: 0A4C4CFA FF01528E
	v_mul_f32_dpp v39, v142, v39 row_newbcast:3 row_mask:0xf bank_mask:0xf// 00000000493C: 0A4E4EFA FF01538E
	v_mul_f32_dpp v40, v142, v40 row_newbcast:4 row_mask:0xf bank_mask:0xf// 000000004944: 0A5050FA FF01548E
	v_mul_f32_dpp v41, v142, v41 row_newbcast:5 row_mask:0xf bank_mask:0xf// 00000000494C: 0A5252FA FF01558E
	v_mul_f32_dpp v42, v142, v42 row_newbcast:6 row_mask:0xf bank_mask:0xf// 000000004954: 0A5454FA FF01568E
	v_mul_f32_dpp v43, v142, v43 row_newbcast:7 row_mask:0xf bank_mask:0xf// 00000000495C: 0A5656FA FF01578E
	v_mul_f32_dpp v44, v142, v44 row_newbcast:8 row_mask:0xf bank_mask:0xf// 000000004964: 0A5858FA FF01588E
	v_mul_f32_dpp v45, v142, v45 row_newbcast:9 row_mask:0xf bank_mask:0xf// 00000000496C: 0A5A5AFA FF01598E
	v_mul_f32_dpp v46, v142, v46 row_newbcast:10 row_mask:0xf bank_mask:0xf// 000000004974: 0A5C5CFA FF015A8E
	v_mul_f32_dpp v47, v142, v47 row_newbcast:11 row_mask:0xf bank_mask:0xf// 00000000497C: 0A5E5EFA FF015B8E
	v_mul_f32_dpp v48, v142, v48 row_newbcast:12 row_mask:0xf bank_mask:0xf// 000000004984: 0A6060FA FF015C8E
	v_mul_f32_dpp v49, v142, v49 row_newbcast:13 row_mask:0xf bank_mask:0xf// 00000000498C: 0A6262FA FF015D8E
	v_mul_f32_dpp v50, v142, v50 row_newbcast:14 row_mask:0xf bank_mask:0xf// 000000004994: 0A6464FA FF015E8E
	v_mul_f32_dpp v51, v142, v51 row_newbcast:15 row_mask:0xf bank_mask:0xf// 00000000499C: 0A6666FA FF015F8E
	v_mul_f32_dpp v52, v142, v52 row_newbcast:0 row_mask:0xf bank_mask:0xf// 0000000049A4: 0A6868FA FF01508E
	v_mul_f32_dpp v53, v142, v53 row_newbcast:1 row_mask:0xf bank_mask:0xf// 0000000049AC: 0A6A6AFA FF01518E
	v_mul_f32_dpp v54, v142, v54 row_newbcast:2 row_mask:0xf bank_mask:0xf// 0000000049B4: 0A6C6CFA FF01528E
	v_mul_f32_dpp v55, v142, v55 row_newbcast:3 row_mask:0xf bank_mask:0xf// 0000000049BC: 0A6E6EFA FF01538E
	v_mul_f32_dpp v56, v142, v56 row_newbcast:4 row_mask:0xf bank_mask:0xf// 0000000049C4: 0A7070FA FF01548E
	v_mul_f32_dpp v57, v142, v57 row_newbcast:5 row_mask:0xf bank_mask:0xf// 0000000049CC: 0A7272FA FF01558E
	v_mul_f32_dpp v58, v142, v58 row_newbcast:6 row_mask:0xf bank_mask:0xf// 0000000049D4: 0A7474FA FF01568E
	v_mul_f32_dpp v59, v142, v59 row_newbcast:7 row_mask:0xf bank_mask:0xf// 0000000049DC: 0A7676FA FF01578E
	v_mul_f32_dpp v60, v142, v60 row_newbcast:8 row_mask:0xf bank_mask:0xf// 0000000049E4: 0A7878FA FF01588E
	v_mul_f32_dpp v61, v142, v61 row_newbcast:9 row_mask:0xf bank_mask:0xf// 0000000049EC: 0A7A7AFA FF01598E
	v_mul_f32_dpp v62, v142, v62 row_newbcast:10 row_mask:0xf bank_mask:0xf// 0000000049F4: 0A7C7CFA FF015A8E
	v_mul_f32_dpp v63, v142, v63 row_newbcast:11 row_mask:0xf bank_mask:0xf// 0000000049FC: 0A7E7EFA FF015B8E
	v_mul_f32_dpp v64, v142, v64 row_newbcast:12 row_mask:0xf bank_mask:0xf// 000000004A04: 0A8080FA FF015C8E
	v_mul_f32_dpp v65, v142, v65 row_newbcast:13 row_mask:0xf bank_mask:0xf// 000000004A0C: 0A8282FA FF015D8E
	v_mul_f32_dpp v66, v142, v66 row_newbcast:14 row_mask:0xf bank_mask:0xf// 000000004A14: 0A8484FA FF015E8E
	v_mul_f32_dpp v67, v142, v67 row_newbcast:15 row_mask:0xf bank_mask:0xf// 000000004A1C: 0A8686FA FF015F8E
	v_mov_b32_e32 v176, 0x358637bd                             // 000000004A24: 7F6002FF 358637BD
	v_max3_f32 v176, |v4|, |v5|, v176                          // 000000004A2C: D1D303B0 06C20B04
	v_max3_f32 v176, |v6|, |v7|, v176                          // 000000004A34: D1D303B0 06C20F06
	v_max3_f32 v176, |v8|, |v9|, v176                          // 000000004A3C: D1D303B0 06C21308
	v_max3_f32 v176, |v10|, |v11|, v176                        // 000000004A44: D1D303B0 06C2170A
	v_max3_f32 v176, |v12|, |v13|, v176                        // 000000004A4C: D1D303B0 06C21B0C
	v_max3_f32 v176, |v14|, |v15|, v176                        // 000000004A54: D1D303B0 06C21F0E
	v_max3_f32 v176, |v16|, |v17|, v176                        // 000000004A5C: D1D303B0 06C22310
	v_max3_f32 v176, |v18|, |v19|, v176                        // 000000004A64: D1D303B0 06C22712
	v_mov_b32_e32 v177, 0x358637bd                             // 000000004A6C: 7F6202FF 358637BD
	v_max3_f32 v177, |v20|, |v21|, v177                        // 000000004A74: D1D303B1 06C62B14
	v_max3_f32 v177, |v22|, |v23|, v177                        // 000000004A7C: D1D303B1 06C62F16
	v_max3_f32 v177, |v24|, |v25|, v177                        // 000000004A84: D1D303B1 06C63318
	v_max3_f32 v177, |v26|, |v27|, v177                        // 000000004A8C: D1D303B1 06C6371A
	v_max3_f32 v177, |v28|, |v29|, v177                        // 000000004A94: D1D303B1 06C63B1C
	v_max3_f32 v177, |v30|, |v31|, v177                        // 000000004A9C: D1D303B1 06C63F1E
	v_max3_f32 v177, |v32|, |v33|, v177                        // 000000004AA4: D1D303B1 06C64320
	v_max3_f32 v177, |v34|, |v35|, v177                        // 000000004AAC: D1D303B1 06C64722
	v_mov_b32_e32 v178, 0x358637bd                             // 000000004AB4: 7F6402FF 358637BD
	v_max3_f32 v178, |v36|, |v37|, v178                        // 000000004ABC: D1D303B2 06CA4B24
	v_max3_f32 v178, |v38|, |v39|, v178                        // 000000004AC4: D1D303B2 06CA4F26
	v_max3_f32 v178, |v40|, |v41|, v178                        // 000000004ACC: D1D303B2 06CA5328
	v_max3_f32 v178, |v42|, |v43|, v178                        // 000000004AD4: D1D303B2 06CA572A
	v_max3_f32 v178, |v44|, |v45|, v178                        // 000000004ADC: D1D303B2 06CA5B2C
	v_max3_f32 v178, |v46|, |v47|, v178                        // 000000004AE4: D1D303B2 06CA5F2E
	v_max3_f32 v178, |v48|, |v49|, v178                        // 000000004AEC: D1D303B2 06CA6330
	v_max3_f32 v178, |v50|, |v51|, v178                        // 000000004AF4: D1D303B2 06CA6732
	v_mov_b32_e32 v179, 0x358637bd                             // 000000004AFC: 7F6602FF 358637BD
	v_max3_f32 v179, |v52|, |v53|, v179                        // 000000004B04: D1D303B3 06CE6B34
	v_max3_f32 v179, |v54|, |v55|, v179                        // 000000004B0C: D1D303B3 06CE6F36
	v_max3_f32 v179, |v56|, |v57|, v179                        // 000000004B14: D1D303B3 06CE7338
	v_max3_f32 v179, |v58|, |v59|, v179                        // 000000004B1C: D1D303B3 06CE773A
	v_max3_f32 v179, |v60|, |v61|, v179                        // 000000004B24: D1D303B3 06CE7B3C
	v_max3_f32 v179, |v62|, |v63|, v179                        // 000000004B2C: D1D303B3 06CE7F3E
	v_max3_f32 v179, |v64|, |v65|, v179                        // 000000004B34: D1D303B3 06CE8340
	v_max3_f32 v179, |v66|, |v67|, v179                        // 000000004B3C: D1D303B3 06CE8742
	ds_bpermute_b32 v180, v200, v176                           // 000000004B44: D87E0000 B400B0C8
	ds_bpermute_b32 v181, v201, v176                           // 000000004B4C: D87E0000 B500B0C9
	ds_bpermute_b32 v182, v202, v176                           // 000000004B54: D87E0000 B600B0CA
	ds_bpermute_b32 v183, v200, v177                           // 000000004B5C: D87E0000 B700B1C8
	ds_bpermute_b32 v184, v201, v177                           // 000000004B64: D87E0000 B800B1C9
	ds_bpermute_b32 v185, v202, v177                           // 000000004B6C: D87E0000 B900B1CA
	ds_bpermute_b32 v186, v200, v178                           // 000000004B74: D87E0000 BA00B2C8
	ds_bpermute_b32 v187, v201, v178                           // 000000004B7C: D87E0000 BB00B2C9
	ds_bpermute_b32 v188, v202, v178                           // 000000004B84: D87E0000 BC00B2CA
	ds_bpermute_b32 v189, v200, v179                           // 000000004B8C: D87E0000 BD00B3C8
	ds_bpermute_b32 v190, v201, v179                           // 000000004B94: D87E0000 BE00B3C9
	ds_bpermute_b32 v191, v202, v179                           // 000000004B9C: D87E0000 BF00B3CA
	s_waitcnt lgkmcnt(9)                                       // 000000004BA4: BF8CC97F
	v_max3_f32 v176, v180, v181, v176                          // 000000004BA8: D1D300B0 06C36BB4
	v_max_f32_e32 v176, v182, v176                             // 000000004BB0: 176161B6
	s_waitcnt lgkmcnt(6)                                       // 000000004BB4: BF8CC67F
	v_max3_f32 v177, v183, v184, v177                          // 000000004BB8: D1D300B1 06C771B7
	v_max_f32_e32 v177, v185, v177                             // 000000004BC0: 176363B9
	s_waitcnt lgkmcnt(3)                                       // 000000004BC4: BF8CC37F
	v_max3_f32 v178, v186, v187, v178                          // 000000004BC8: D1D300B2 06CB77BA
	v_max_f32_e32 v178, v188, v178                             // 000000004BD0: 176565BC
	s_waitcnt lgkmcnt(0)                                       // 000000004BD4: BF8CC07F
	v_max3_f32 v179, v189, v190, v179                          // 000000004BD8: D1D300B3 06CF7DBD
	v_max_f32_e32 v179, v191, v179                             // 000000004BE0: 176767BF
	ds_write_b128 v247, v[176:179] offset:4096                 // 000000004BE4: D9BE1000 0000B0F7
	buffer_load_dword v141, v231, s[20:23], 0 offen            // 000000004BEC: E0501000 80058DE7
	s_waitcnt lgkmcnt(0)                                       // 000000004BF4: BF8CC07F
	s_barrier                                                  // 000000004BF8: BF8A0000
	buffer_load_dword v143, v232, s[24:27], 0 offen            // 000000004BFC: E0501000 80068FE8
	ds_read_b128 v[180:183], v248 offset:4096                  // 000000004C04: D9FE1000 B40000F8
	ds_read_b128 v[184:187], v248 offset:4352                  // 000000004C0C: D9FE1100 B80000F8
	ds_read_b128 v[188:191], v248 offset:4608                  // 000000004C14: D9FE1200 BC0000F8
	ds_read_b128 v[192:195], v248 offset:4864                  // 000000004C1C: D9FE1300 C00000F8
	s_waitcnt lgkmcnt(0)                                       // 000000004C24: BF8CC07F
	v_max3_f32 v176, v180, v184, v176                          // 000000004C28: D1D300B0 06C371B4
	v_max3_f32 v177, v181, v185, v177                          // 000000004C30: D1D300B1 06C773B5
	v_max3_f32 v178, v182, v186, v178                          // 000000004C38: D1D300B2 06CB75B6
	v_max3_f32 v179, v183, v187, v179                          // 000000004C40: D1D300B3 06CF77B7
	v_max3_f32 v176, v188, v192, v176                          // 000000004C48: D1D300B0 06C381BC
	v_max3_f32 v177, v189, v193, v177                          // 000000004C50: D1D300B1 06C783BD
	v_max3_f32 v178, v190, v194, v178                          // 000000004C58: D1D300B2 06CB85BE
	v_max3_f32 v179, v191, v195, v179                          // 000000004C60: D1D300B3 06CF87BF
	v_rcp_f32_e32 v176, v176                                   // 000000004C68: 7F6045B0
	v_rcp_f32_e32 v177, v177                                   // 000000004C6C: 7F6245B1
	v_rcp_f32_e32 v178, v178                                   // 000000004C70: 7F6445B2
	v_rcp_f32_e32 v179, v179                                   // 000000004C74: 7F6645B3
	v_mul_f32_e32 v176, 0x43700000, v176                       // 000000004C78: 0B6160FF 43700000
	v_mul_f32_e32 v177, 0x43700000, v177                       // 000000004C80: 0B6362FF 43700000
	v_mul_f32_e32 v178, 0x43700000, v178                       // 000000004C88: 0B6564FF 43700000
	v_mul_f32_e32 v179, 0x43700000, v179                       // 000000004C90: 0B6766FF 43700000
	v_mul_f32_e32 v4, v176, v4                                 // 000000004C98: 0A0809B0
	v_mul_f32_e32 v5, v176, v5                                 // 000000004C9C: 0A0A0BB0
	v_mul_f32_e32 v6, v176, v6                                 // 000000004CA0: 0A0C0DB0
	v_mul_f32_e32 v7, v176, v7                                 // 000000004CA4: 0A0E0FB0
	v_mul_f32_e32 v8, v176, v8                                 // 000000004CA8: 0A1011B0
	v_mul_f32_e32 v9, v176, v9                                 // 000000004CAC: 0A1213B0
	v_mul_f32_e32 v10, v176, v10                               // 000000004CB0: 0A1415B0
	v_mul_f32_e32 v11, v176, v11                               // 000000004CB4: 0A1617B0
	v_mul_f32_e32 v12, v176, v12                               // 000000004CB8: 0A1819B0
	v_mul_f32_e32 v13, v176, v13                               // 000000004CBC: 0A1A1BB0
	v_mul_f32_e32 v14, v176, v14                               // 000000004CC0: 0A1C1DB0
	v_mul_f32_e32 v15, v176, v15                               // 000000004CC4: 0A1E1FB0
	v_mul_f32_e32 v16, v176, v16                               // 000000004CC8: 0A2021B0
	v_mul_f32_e32 v17, v176, v17                               // 000000004CCC: 0A2223B0
	v_mul_f32_e32 v18, v176, v18                               // 000000004CD0: 0A2425B0
	v_mul_f32_e32 v19, v176, v19                               // 000000004CD4: 0A2627B0
	v_mul_f32_e32 v20, v177, v20                               // 000000004CD8: 0A2829B1
	v_mul_f32_e32 v21, v177, v21                               // 000000004CDC: 0A2A2BB1
	v_mul_f32_e32 v22, v177, v22                               // 000000004CE0: 0A2C2DB1
	v_mul_f32_e32 v23, v177, v23                               // 000000004CE4: 0A2E2FB1
	v_mul_f32_e32 v24, v177, v24                               // 000000004CE8: 0A3031B1
	v_mul_f32_e32 v25, v177, v25                               // 000000004CEC: 0A3233B1
	v_mul_f32_e32 v26, v177, v26                               // 000000004CF0: 0A3435B1
	v_mul_f32_e32 v27, v177, v27                               // 000000004CF4: 0A3637B1
	v_mul_f32_e32 v28, v177, v28                               // 000000004CF8: 0A3839B1
	v_mul_f32_e32 v29, v177, v29                               // 000000004CFC: 0A3A3BB1
	v_mul_f32_e32 v30, v177, v30                               // 000000004D00: 0A3C3DB1
	v_mul_f32_e32 v31, v177, v31                               // 000000004D04: 0A3E3FB1
	v_mul_f32_e32 v32, v177, v32                               // 000000004D08: 0A4041B1
	v_mul_f32_e32 v33, v177, v33                               // 000000004D0C: 0A4243B1
	v_mul_f32_e32 v34, v177, v34                               // 000000004D10: 0A4445B1
	v_mul_f32_e32 v35, v177, v35                               // 000000004D14: 0A4647B1
	v_mul_f32_e32 v36, v178, v36                               // 000000004D18: 0A4849B2
	v_mul_f32_e32 v37, v178, v37                               // 000000004D1C: 0A4A4BB2
	v_mul_f32_e32 v38, v178, v38                               // 000000004D20: 0A4C4DB2
	v_mul_f32_e32 v39, v178, v39                               // 000000004D24: 0A4E4FB2
	v_mul_f32_e32 v40, v178, v40                               // 000000004D28: 0A5051B2
	v_mul_f32_e32 v41, v178, v41                               // 000000004D2C: 0A5253B2
	v_mul_f32_e32 v42, v178, v42                               // 000000004D30: 0A5455B2
	v_mul_f32_e32 v43, v178, v43                               // 000000004D34: 0A5657B2
	v_mul_f32_e32 v44, v178, v44                               // 000000004D38: 0A5859B2
	v_mul_f32_e32 v45, v178, v45                               // 000000004D3C: 0A5A5BB2
	v_mul_f32_e32 v46, v178, v46                               // 000000004D40: 0A5C5DB2
	v_mul_f32_e32 v47, v178, v47                               // 000000004D44: 0A5E5FB2
	v_mul_f32_e32 v48, v178, v48                               // 000000004D48: 0A6061B2
	v_mul_f32_e32 v49, v178, v49                               // 000000004D4C: 0A6263B2
	v_mul_f32_e32 v50, v178, v50                               // 000000004D50: 0A6465B2
	v_mul_f32_e32 v51, v178, v51                               // 000000004D54: 0A6667B2
	v_mul_f32_e32 v52, v179, v52                               // 000000004D58: 0A6869B3
	v_mul_f32_e32 v53, v179, v53                               // 000000004D5C: 0A6A6BB3
	v_mul_f32_e32 v54, v179, v54                               // 000000004D60: 0A6C6DB3
	v_mul_f32_e32 v55, v179, v55                               // 000000004D64: 0A6E6FB3
	v_mul_f32_e32 v56, v179, v56                               // 000000004D68: 0A7071B3
	v_mul_f32_e32 v57, v179, v57                               // 000000004D6C: 0A7273B3
	v_mul_f32_e32 v58, v179, v58                               // 000000004D70: 0A7475B3
	v_mul_f32_e32 v59, v179, v59                               // 000000004D74: 0A7677B3
	v_mul_f32_e32 v60, v179, v60                               // 000000004D78: 0A7879B3
	v_mul_f32_e32 v61, v179, v61                               // 000000004D7C: 0A7A7BB3
	v_mul_f32_e32 v62, v179, v62                               // 000000004D80: 0A7C7DB3
	v_mul_f32_e32 v63, v179, v63                               // 000000004D84: 0A7E7FB3
	v_mul_f32_e32 v64, v179, v64                               // 000000004D88: 0A8081B3
	v_mul_f32_e32 v65, v179, v65                               // 000000004D8C: 0A8283B3
	v_mul_f32_e32 v66, v179, v66                               // 000000004D90: 0A8485B3
	v_mul_f32_e32 v67, v179, v67                               // 000000004D94: 0A8687B3
	v_cvt_pk_fp8_f32 v4, v4, v5                                // 000000004D98: D2A20004 00020B04
	v_cvt_pk_fp8_f32 v4, v6, v7 op_sel:[0,0,1]                 // 000000004DA0: D2A24004 00020F06
	v_cvt_pk_fp8_f32 v5, v8, v9                                // 000000004DA8: D2A20005 00021308
	v_cvt_pk_fp8_f32 v5, v10, v11 op_sel:[0,0,1]               // 000000004DB0: D2A24005 0002170A
	v_cvt_pk_fp8_f32 v6, v12, v13                              // 000000004DB8: D2A20006 00021B0C
	v_cvt_pk_fp8_f32 v6, v14, v15 op_sel:[0,0,1]               // 000000004DC0: D2A24006 00021F0E
	v_cvt_pk_fp8_f32 v7, v16, v17                              // 000000004DC8: D2A20007 00022310
	v_cvt_pk_fp8_f32 v7, v18, v19 op_sel:[0,0,1]               // 000000004DD0: D2A24007 00022712
	v_cvt_pk_fp8_f32 v8, v20, v21                              // 000000004DD8: D2A20008 00022B14
	v_cvt_pk_fp8_f32 v8, v22, v23 op_sel:[0,0,1]               // 000000004DE0: D2A24008 00022F16
	v_cvt_pk_fp8_f32 v9, v24, v25                              // 000000004DE8: D2A20009 00023318
	v_cvt_pk_fp8_f32 v9, v26, v27 op_sel:[0,0,1]               // 000000004DF0: D2A24009 0002371A
	v_cvt_pk_fp8_f32 v10, v28, v29                             // 000000004DF8: D2A2000A 00023B1C
	v_cvt_pk_fp8_f32 v10, v30, v31 op_sel:[0,0,1]              // 000000004E00: D2A2400A 00023F1E
	v_cvt_pk_fp8_f32 v11, v32, v33                             // 000000004E08: D2A2000B 00024320
	v_cvt_pk_fp8_f32 v11, v34, v35 op_sel:[0,0,1]              // 000000004E10: D2A2400B 00024722
	v_cvt_pk_fp8_f32 v12, v36, v37                             // 000000004E18: D2A2000C 00024B24
	v_cvt_pk_fp8_f32 v12, v38, v39 op_sel:[0,0,1]              // 000000004E20: D2A2400C 00024F26
	v_cvt_pk_fp8_f32 v13, v40, v41                             // 000000004E28: D2A2000D 00025328
	v_cvt_pk_fp8_f32 v13, v42, v43 op_sel:[0,0,1]              // 000000004E30: D2A2400D 0002572A
	v_cvt_pk_fp8_f32 v14, v44, v45                             // 000000004E38: D2A2000E 00025B2C
	v_cvt_pk_fp8_f32 v14, v46, v47 op_sel:[0,0,1]              // 000000004E40: D2A2400E 00025F2E
	v_cvt_pk_fp8_f32 v15, v48, v49                             // 000000004E48: D2A2000F 00026330
	v_cvt_pk_fp8_f32 v15, v50, v51 op_sel:[0,0,1]              // 000000004E50: D2A2400F 00026732
	v_cvt_pk_fp8_f32 v16, v52, v53                             // 000000004E58: D2A20010 00026B34
	v_cvt_pk_fp8_f32 v16, v54, v55 op_sel:[0,0,1]              // 000000004E60: D2A24010 00026F36
	v_cvt_pk_fp8_f32 v17, v56, v57                             // 000000004E68: D2A20011 00027338
	v_cvt_pk_fp8_f32 v17, v58, v59 op_sel:[0,0,1]              // 000000004E70: D2A24011 0002773A
	v_cvt_pk_fp8_f32 v18, v60, v61                             // 000000004E78: D2A20012 00027B3C
	v_cvt_pk_fp8_f32 v18, v62, v63 op_sel:[0,0,1]              // 000000004E80: D2A24012 00027F3E
	v_cvt_pk_fp8_f32 v19, v64, v65                             // 000000004E88: D2A20013 00028340
	v_cvt_pk_fp8_f32 v19, v66, v67 op_sel:[0,0,1]              // 000000004E90: D2A24013 00028742
	ds_write_b32 v249, v4 offset:8192                          // 000000004E98: D81A2000 000004F9
	ds_write_b32 v249, v5 offset:9216                          // 000000004EA0: D81A2400 000005F9
	ds_write_b32 v249, v6 offset:10240                         // 000000004EA8: D81A2800 000006F9
	ds_write_b32 v249, v7 offset:11264                         // 000000004EB0: D81A2C00 000007F9
	ds_write_b32 v249, v8 offset:12288                         // 000000004EB8: D81A3000 000008F9
	ds_write_b32 v249, v9 offset:13312                         // 000000004EC0: D81A3400 000009F9
	ds_write_b32 v249, v10 offset:14336                        // 000000004EC8: D81A3800 00000AF9
	ds_write_b32 v249, v11 offset:15360                        // 000000004ED0: D81A3C00 00000BF9
	ds_write_b32 v249, v12 offset:16384                        // 000000004ED8: D81A4000 00000CF9
	ds_write_b32 v249, v13 offset:17408                        // 000000004EE0: D81A4400 00000DF9
	ds_write_b32 v249, v14 offset:18432                        // 000000004EE8: D81A4800 00000EF9
	ds_write_b32 v249, v15 offset:19456                        // 000000004EF0: D81A4C00 00000FF9
	ds_write_b32 v249, v16 offset:20480                        // 000000004EF8: D81A5000 000010F9
	ds_write_b32 v249, v17 offset:21504                        // 000000004F00: D81A5400 000011F9
	ds_write_b32 v249, v18 offset:22528                        // 000000004F08: D81A5800 000012F9
	ds_write_b32 v249, v19 offset:23552                        // 000000004F10: D81A5C00 000013F9
	v_rcp_f32_e32 v144, v176                                   // 000000004F18: 7F2045B0
	v_rcp_f32_e32 v146, v177                                   // 000000004F1C: 7F2445B1
	v_rcp_f32_e32 v148, v178                                   // 000000004F20: 7F2845B2
	v_rcp_f32_e32 v150, v179                                   // 000000004F24: 7F2C45B3
	v_mov_b32_e32 v145, v144                                   // 000000004F28: 7F220390
	v_mov_b32_e32 v147, v146                                   // 000000004F2C: 7F260392
	v_mov_b32_e32 v149, v148                                   // 000000004F30: 7F2A0394
	v_mov_b32_e32 v151, v150                                   // 000000004F34: 7F2E0396
	v_pk_add_f32 v[100:101], v[100:101], v[68:69]              // 000000004F38: D3B24064 18028964
	v_pk_add_f32 v[102:103], v[102:103], v[70:71]              // 000000004F40: D3B24066 18028D66
	v_pk_add_f32 v[104:105], v[104:105], v[72:73]              // 000000004F48: D3B24068 18029168
	v_pk_add_f32 v[106:107], v[106:107], v[74:75]              // 000000004F50: D3B2406A 1802956A
	v_pk_add_f32 v[108:109], v[108:109], v[76:77]              // 000000004F58: D3B2406C 1802996C
	v_pk_add_f32 v[110:111], v[110:111], v[78:79]              // 000000004F60: D3B2406E 18029D6E
	v_pk_add_f32 v[112:113], v[112:113], v[80:81]              // 000000004F68: D3B24070 1802A170
	v_pk_add_f32 v[114:115], v[114:115], v[82:83]              // 000000004F70: D3B24072 1802A572
	v_pk_add_f32 v[116:117], v[116:117], v[84:85]              // 000000004F78: D3B24074 1802A974
	v_pk_add_f32 v[118:119], v[118:119], v[86:87]              // 000000004F80: D3B24076 1802AD76
	v_pk_add_f32 v[120:121], v[120:121], v[88:89]              // 000000004F88: D3B24078 1802B178
	v_pk_add_f32 v[122:123], v[122:123], v[90:91]              // 000000004F90: D3B2407A 1802B57A
	v_pk_add_f32 v[124:125], v[124:125], v[92:93]              // 000000004F98: D3B2407C 1802B97C
	v_pk_add_f32 v[126:127], v[126:127], v[94:95]              // 000000004FA0: D3B2407E 1802BD7E
	v_pk_add_f32 v[128:129], v[128:129], v[96:97]              // 000000004FA8: D3B24080 1802C180
	v_pk_add_f32 v[130:131], v[130:131], v[98:99]              // 000000004FB0: D3B24082 1802C582
	s_waitcnt lgkmcnt(0)                                       // 000000004FB8: BF8CC07F
	s_barrier                                                  // 000000004FBC: BF8A0000
	ds_read_b128 v[4:7], v250 offset:8192                      // 000000004FC0: D9FE2000 040000FA
	ds_read_b128 v[8:11], v250 offset:9216                     // 000000004FC8: D9FE2400 080000FA
	ds_read_b128 v[12:15], v250 offset:10240                   // 000000004FD0: D9FE2800 0C0000FA
	ds_read_b128 v[16:19], v250 offset:11264                   // 000000004FD8: D9FE2C00 100000FA
	ds_read_b128 v[20:23], v250 offset:12288                   // 000000004FE0: D9FE3000 140000FA
	ds_read_b128 v[24:27], v250 offset:13312                   // 000000004FE8: D9FE3400 180000FA
	ds_read_b128 v[28:31], v250 offset:14336                   // 000000004FF0: D9FE3800 1C0000FA
	ds_read_b128 v[32:35], v250 offset:15360                   // 000000004FF8: D9FE3C00 200000FA
	ds_read_b128 v[36:39], v250 offset:16384                   // 000000005000: D9FE4000 240000FA
	ds_read_b128 v[40:43], v250 offset:17408                   // 000000005008: D9FE4400 280000FA
	ds_read_b128 v[44:47], v250 offset:18432                   // 000000005010: D9FE4800 2C0000FA
	ds_read_b128 v[48:51], v250 offset:19456                   // 000000005018: D9FE4C00 300000FA
	ds_read_b128 v[52:55], v250 offset:20480                   // 000000005020: D9FE5000 340000FA
	ds_read_b128 v[56:59], v250 offset:21504                   // 000000005028: D9FE5400 380000FA
	ds_read_b128 v[60:63], v250 offset:22528                   // 000000005030: D9FE5800 3C0000FA
	ds_read_b128 v[64:67], v250 offset:23552                   // 000000005038: D9FE5C00 400000FA
	s_waitcnt vmcnt(10)                                        // 000000005040: BF8C0F7A
	s_waitcnt vmcnt(63) expcnt(7) lgkmcnt(15)                  // 000000005044: BF8CCF7F
	v_mfma_f32_16x16x32_fp8_fp8 v[68:71], a[96:97], v[4:5], 0  // 000000005048: D3F30044 0A020960
	s_lshl_b32 s68, s76, 2                                     // 000000005050: 8E44824C
	v_mfma_f32_16x16x32_fp8_fp8 v[72:75], a[112:113], v[4:5], 0// 000000005054: D3F30048 0A020970
	s_cmp_lt_u32 s76, s77                                      // 00000000505C: BF0A4D4C
	s_cselect_b32 s68, s68, 0                                  // 000000005060: 85448044
	v_mfma_f32_16x16x32_fp8_fp8 v[68:71], a[98:99], v[6:7], v[68:71]// 000000005064: D3F30044 0D120D62
	buffer_load_dwordx4 a[128:131], v227, s[16:19], 0 offen    // 00000000506C: E05C1000 808480E3
	v_mfma_f32_16x16x32_fp8_fp8 v[72:75], a[114:115], v[6:7], v[72:75]// 000000005074: D3F30048 0D220D72
	s_addk_i32 s76, 0x1                                        // 00000000507C: B74C0001
	s_waitcnt lgkmcnt(14)                                      // 000000005080: BF8CCE7F
	v_mfma_f32_16x16x32_fp8_fp8 v[68:71], a[100:101], v[8:9], v[68:71]// 000000005084: D3F30044 0D121164
	v_mfma_f32_16x16x32_fp8_fp8 v[72:75], a[116:117], v[8:9], v[72:75]// 00000000508C: D3F30048 0D221174
	v_mfma_f32_16x16x32_fp8_fp8 v[68:71], a[102:103], v[10:11], v[68:71]// 000000005094: D3F30044 0D121566
	buffer_load_dwordx4 a[132:135], v228, s[16:19], 0 offen    // 00000000509C: E05C1000 808484E4
	v_mfma_f32_16x16x32_fp8_fp8 v[72:75], a[118:119], v[10:11], v[72:75]// 0000000050A4: D3F30048 0D221576
	s_waitcnt lgkmcnt(13)                                      // 0000000050AC: BF8CCD7F
	v_mfma_f32_16x16x32_fp8_fp8 v[68:71], a[104:105], v[12:13], v[68:71]// 0000000050B0: D3F30044 0D121968
	v_mfma_f32_16x16x32_fp8_fp8 v[72:75], a[120:121], v[12:13], v[72:75]// 0000000050B8: D3F30048 0D221978
	v_mfma_f32_16x16x32_fp8_fp8 v[68:71], a[106:107], v[14:15], v[68:71]// 0000000050C0: D3F30044 0D121D6A
	buffer_load_dwordx4 a[136:139], v229, s[16:19], 0 offen    // 0000000050C8: E05C1000 808488E5
	v_mfma_f32_16x16x32_fp8_fp8 v[72:75], a[122:123], v[14:15], v[72:75]// 0000000050D0: D3F30048 0D221D7A
	s_waitcnt lgkmcnt(12)                                      // 0000000050D8: BF8CCC7F
	v_mfma_f32_16x16x32_fp8_fp8 v[68:71], a[108:109], v[16:17], v[68:71]// 0000000050DC: D3F30044 0D12216C
	v_mfma_f32_16x16x32_fp8_fp8 v[72:75], a[124:125], v[16:17], v[72:75]// 0000000050E4: D3F30048 0D22217C
	v_mfma_f32_16x16x32_fp8_fp8 v[68:71], a[110:111], v[18:19], v[68:71]// 0000000050EC: D3F30044 0D12256E
	buffer_load_dwordx4 a[140:143], v230, s[16:19], 0 offen    // 0000000050F4: E05C1000 80848CE6
	v_mfma_f32_16x16x32_fp8_fp8 v[72:75], a[126:127], v[18:19], v[72:75]// 0000000050FC: D3F30048 0D22257E
	s_waitcnt lgkmcnt(11)                                      // 000000005104: BF8CCB7F
	v_mfma_f32_16x16x32_fp8_fp8 v[76:79], a[96:97], v[20:21], 0// 000000005108: D3F3004C 0A022960
	v_mfma_f32_16x16x32_fp8_fp8 v[80:83], a[112:113], v[20:21], 0// 000000005110: D3F30050 0A022970
	v_mfma_f32_16x16x32_fp8_fp8 v[76:79], a[98:99], v[22:23], v[76:79]// 000000005118: D3F3004C 0D322D62
	buffer_load_dwordx4 a[144:147], v227, s[16:19], 0 offen offset:1024// 000000005120: E05C1400 808490E3
	v_mfma_f32_16x16x32_fp8_fp8 v[80:83], a[114:115], v[22:23], v[80:83]// 000000005128: D3F30050 0D422D72
	s_waitcnt lgkmcnt(10)                                      // 000000005130: BF8CCA7F
	v_mfma_f32_16x16x32_fp8_fp8 v[76:79], a[100:101], v[24:25], v[76:79]// 000000005134: D3F3004C 0D323164
	v_mfma_f32_16x16x32_fp8_fp8 v[80:83], a[116:117], v[24:25], v[80:83]// 00000000513C: D3F30050 0D423174
	v_mfma_f32_16x16x32_fp8_fp8 v[76:79], a[102:103], v[26:27], v[76:79]// 000000005144: D3F3004C 0D323566
	buffer_load_dwordx4 a[148:151], v228, s[16:19], 0 offen offset:1024// 00000000514C: E05C1400 808494E4
	v_mfma_f32_16x16x32_fp8_fp8 v[80:83], a[118:119], v[26:27], v[80:83]// 000000005154: D3F30050 0D423576
	s_waitcnt lgkmcnt(9)                                       // 00000000515C: BF8CC97F
	v_mfma_f32_16x16x32_fp8_fp8 v[76:79], a[104:105], v[28:29], v[76:79]// 000000005160: D3F3004C 0D323968
	v_mfma_f32_16x16x32_fp8_fp8 v[80:83], a[120:121], v[28:29], v[80:83]// 000000005168: D3F30050 0D423978
	v_mfma_f32_16x16x32_fp8_fp8 v[76:79], a[106:107], v[30:31], v[76:79]// 000000005170: D3F3004C 0D323D6A
	buffer_load_dwordx4 a[152:155], v229, s[16:19], 0 offen offset:1024// 000000005178: E05C1400 808498E5
	v_mfma_f32_16x16x32_fp8_fp8 v[80:83], a[122:123], v[30:31], v[80:83]// 000000005180: D3F30050 0D423D7A
	s_waitcnt lgkmcnt(8)                                       // 000000005188: BF8CC87F
	v_mfma_f32_16x16x32_fp8_fp8 v[76:79], a[108:109], v[32:33], v[76:79]// 00000000518C: D3F3004C 0D32416C
	v_mfma_f32_16x16x32_fp8_fp8 v[80:83], a[124:125], v[32:33], v[80:83]// 000000005194: D3F30050 0D42417C
	v_mfma_f32_16x16x32_fp8_fp8 v[76:79], a[110:111], v[34:35], v[76:79]// 00000000519C: D3F3004C 0D32456E
	buffer_load_dwordx4 a[156:159], v230, s[16:19], 0 offen offset:1024// 0000000051A4: E05C1400 80849CE6
	v_mfma_f32_16x16x32_fp8_fp8 v[80:83], a[126:127], v[34:35], v[80:83]// 0000000051AC: D3F30050 0D42457E
	s_waitcnt lgkmcnt(7)                                       // 0000000051B4: BF8CC77F
	v_mfma_f32_16x16x32_fp8_fp8 v[84:87], a[96:97], v[36:37], 0// 0000000051B8: D3F30054 0A024960
	v_mfma_f32_16x16x32_fp8_fp8 v[88:91], a[112:113], v[36:37], 0// 0000000051C0: D3F30058 0A024970
	v_mfma_f32_16x16x32_fp8_fp8 v[84:87], a[98:99], v[38:39], v[84:87]// 0000000051C8: D3F30054 0D524D62
	v_mfma_f32_16x16x32_fp8_fp8 v[88:91], a[114:115], v[38:39], v[88:91]// 0000000051D0: D3F30058 0D624D72
	s_waitcnt lgkmcnt(6)                                       // 0000000051D8: BF8CC67F
	v_mfma_f32_16x16x32_fp8_fp8 v[84:87], a[100:101], v[40:41], v[84:87]// 0000000051DC: D3F30054 0D525164
	v_mfma_f32_16x16x32_fp8_fp8 v[88:91], a[116:117], v[40:41], v[88:91]// 0000000051E4: D3F30058 0D625174
	v_mfma_f32_16x16x32_fp8_fp8 v[84:87], a[102:103], v[42:43], v[84:87]// 0000000051EC: D3F30054 0D525566
	v_mfma_f32_16x16x32_fp8_fp8 v[88:91], a[118:119], v[42:43], v[88:91]// 0000000051F4: D3F30058 0D625576
	s_waitcnt lgkmcnt(5)                                       // 0000000051FC: BF8CC57F
	v_mfma_f32_16x16x32_fp8_fp8 v[84:87], a[104:105], v[44:45], v[84:87]// 000000005200: D3F30054 0D525968
	v_mfma_f32_16x16x32_fp8_fp8 v[88:91], a[120:121], v[44:45], v[88:91]// 000000005208: D3F30058 0D625978
	v_mfma_f32_16x16x32_fp8_fp8 v[84:87], a[106:107], v[46:47], v[84:87]// 000000005210: D3F30054 0D525D6A
	v_mfma_f32_16x16x32_fp8_fp8 v[88:91], a[122:123], v[46:47], v[88:91]// 000000005218: D3F30058 0D625D7A
	s_waitcnt lgkmcnt(4)                                       // 000000005220: BF8CC47F
	v_mfma_f32_16x16x32_fp8_fp8 v[84:87], a[108:109], v[48:49], v[84:87]// 000000005224: D3F30054 0D52616C
	v_mfma_f32_16x16x32_fp8_fp8 v[88:91], a[124:125], v[48:49], v[88:91]// 00000000522C: D3F30058 0D62617C
	v_mfma_f32_16x16x32_fp8_fp8 v[84:87], a[110:111], v[50:51], v[84:87]// 000000005234: D3F30054 0D52656E
	v_mfma_f32_16x16x32_fp8_fp8 v[88:91], a[126:127], v[50:51], v[88:91]// 00000000523C: D3F30058 0D62657E
	s_waitcnt lgkmcnt(3)                                       // 000000005244: BF8CC37F
	v_mfma_f32_16x16x32_fp8_fp8 v[92:95], a[96:97], v[52:53], 0// 000000005248: D3F3005C 0A026960
	v_mfma_f32_16x16x32_fp8_fp8 v[96:99], a[112:113], v[52:53], 0// 000000005250: D3F30060 0A026970
	v_mfma_f32_16x16x32_fp8_fp8 v[92:95], a[98:99], v[54:55], v[92:95]// 000000005258: D3F3005C 0D726D62
	v_mfma_f32_16x16x32_fp8_fp8 v[96:99], a[114:115], v[54:55], v[96:99]// 000000005260: D3F30060 0D826D72
	s_waitcnt lgkmcnt(2)                                       // 000000005268: BF8CC27F
	v_mfma_f32_16x16x32_fp8_fp8 v[92:95], a[100:101], v[56:57], v[92:95]// 00000000526C: D3F3005C 0D727164
	v_mfma_f32_16x16x32_fp8_fp8 v[96:99], a[116:117], v[56:57], v[96:99]// 000000005274: D3F30060 0D827174
	v_mfma_f32_16x16x32_fp8_fp8 v[92:95], a[102:103], v[58:59], v[92:95]// 00000000527C: D3F3005C 0D727566
	v_mfma_f32_16x16x32_fp8_fp8 v[96:99], a[118:119], v[58:59], v[96:99]// 000000005284: D3F30060 0D827576
	s_waitcnt lgkmcnt(1)                                       // 00000000528C: BF8CC17F
	v_mfma_f32_16x16x32_fp8_fp8 v[92:95], a[104:105], v[60:61], v[92:95]// 000000005290: D3F3005C 0D727968
	v_mfma_f32_16x16x32_fp8_fp8 v[96:99], a[120:121], v[60:61], v[96:99]// 000000005298: D3F30060 0D827978
	v_mfma_f32_16x16x32_fp8_fp8 v[92:95], a[106:107], v[62:63], v[92:95]// 0000000052A0: D3F3005C 0D727D6A
	v_mfma_f32_16x16x32_fp8_fp8 v[96:99], a[122:123], v[62:63], v[96:99]// 0000000052A8: D3F30060 0D827D7A
	s_waitcnt lgkmcnt(0)                                       // 0000000052B0: BF8CC07F
	v_mfma_f32_16x16x32_fp8_fp8 v[92:95], a[108:109], v[64:65], v[92:95]// 0000000052B4: D3F3005C 0D72816C
	v_mfma_f32_16x16x32_fp8_fp8 v[96:99], a[124:125], v[64:65], v[96:99]// 0000000052BC: D3F30060 0D82817C
	v_mfma_f32_16x16x32_fp8_fp8 v[92:95], a[110:111], v[66:67], v[92:95]// 0000000052C4: D3F3005C 0D72856E
	v_mfma_f32_16x16x32_fp8_fp8 v[96:99], a[126:127], v[66:67], v[96:99]// 0000000052CC: D3F30060 0D82857E
	s_load_dword s59, s[42:43], s68                            // 0000000052D4: C0000ED5 00000044
	s_addk_i32 s64, 0x100                                      // 0000000052DC: B7400100
	s_cmp_lt_i32 s64, s63                                      // 0000000052E0: BF043F40
	s_cbranch_scc0 label_3D12                                  // 0000000052E4: BF843258
	s_waitcnt vmcnt(10)                                        // 0000000052E8: BF8C0F7A
	v_mfma_f32_16x16x32_fp8_fp8 v[4:7], a[64:65], a[0:1], 0    // 0000000052EC: D3F30004 1A020140
	s_add_u32 s12, s86, s69                                    // 0000000052F4: 800C4556
	s_addc_u32 s13, s87, 0                                     // 0000000052F8: 820D8057
	v_mfma_f32_16x16x32_fp8_fp8 v[4:7], a[66:67], a[2:3], v[4:7]// 0000000052FC: D3F30004 1C120542
	s_add_u32 s16, s88, s70                                    // 000000005304: 80104658
	s_addc_u32 s17, s89, 0                                     // 000000005308: 82118059
	v_mfma_f32_16x16x32_fp8_fp8 v[4:7], a[68:69], a[4:5], v[4:7]// 00000000530C: D3F30004 1C120944
	buffer_load_dwordx4 a[32:35], v225, s[12:15], 0 offen      // 000000005314: E05C1000 808320E1
	v_mfma_f32_16x16x32_fp8_fp8 v[4:7], a[70:71], a[6:7], v[4:7]// 00000000531C: D3F30004 1C120D46
	s_add_u32 s20, s90, s71                                    // 000000005324: 8014475A
	s_addc_u32 s21, s91, 0                                     // 000000005328: 8215805B
	v_mfma_f32_16x16x32_fp8_fp8 v[8:11], a[72:73], a[0:1], 0   // 00000000532C: D3F30008 1A020148
	s_add_u32 s24, s92, s71                                    // 000000005334: 8018475C
	s_addc_u32 s25, s93, 0                                     // 000000005338: 8219805D
	v_mfma_f32_16x16x32_fp8_fp8 v[8:11], a[74:75], a[2:3], v[8:11]// 00000000533C: D3F30008 1C22054A
	s_add_u32 s69, s69, 0x1000                                 // 000000005344: 8045FF45 00001000
	s_add_u32 s70, s70, 0x8000                                 // 00000000534C: 8046FF46 00008000
	v_mfma_f32_16x16x32_fp8_fp8 v[8:11], a[76:77], a[4:5], v[8:11]// 000000005354: D3F30008 1C22094C
	buffer_load_dwordx4 a[36:39], v226, s[12:15], 0 offen      // 00000000535C: E05C1000 808324E2
	v_mfma_f32_16x16x32_fp8_fp8 v[8:11], a[78:79], a[6:7], v[8:11]// 000000005364: D3F30008 1C220D4E
	s_add_u32 s71, s71, 0x400                                  // 00000000536C: 8047FF47 00000400
	v_mfma_f32_16x16x32_fp8_fp8 v[12:15], a[80:81], a[0:1], 0  // 000000005374: D3F3000C 1A020150
	v_mfma_f32_16x16x32_fp8_fp8 v[12:15], a[82:83], a[2:3], v[12:15]// 00000000537C: D3F3000C 1C320552
	v_mfma_f32_16x16x32_fp8_fp8 v[12:15], a[84:85], a[4:5], v[12:15]// 000000005384: D3F3000C 1C320954
	buffer_load_dwordx4 a[40:43], v225, s[12:15], 0 offen offset:1024// 00000000538C: E05C1400 808328E1
	v_mfma_f32_16x16x32_fp8_fp8 v[12:15], a[86:87], a[6:7], v[12:15]// 000000005394: D3F3000C 1C320D56
	v_mfma_f32_16x16x32_fp8_fp8 v[16:19], a[88:89], a[0:1], 0  // 00000000539C: D3F30010 1A020158
	v_mfma_f32_16x16x32_fp8_fp8 v[16:19], a[90:91], a[2:3], v[16:19]// 0000000053A4: D3F30010 1C42055A
	v_mfma_f32_16x16x32_fp8_fp8 v[16:19], a[92:93], a[4:5], v[16:19]// 0000000053AC: D3F30010 1C42095C
	buffer_load_dwordx4 a[44:47], v226, s[12:15], 0 offen offset:1024// 0000000053B4: E05C1400 80832CE2
	v_mfma_f32_16x16x32_fp8_fp8 v[16:19], a[94:95], a[6:7], v[16:19]// 0000000053BC: D3F30010 1C420D5E
	v_mfma_f32_16x16x32_fp8_fp8 v[20:23], a[64:65], a[8:9], 0  // 0000000053C4: D3F30014 1A021140
	v_mfma_f32_16x16x32_fp8_fp8 v[20:23], a[66:67], a[10:11], v[20:23]// 0000000053CC: D3F30014 1C521542
	v_mfma_f32_16x16x32_fp8_fp8 v[20:23], a[68:69], a[12:13], v[20:23]// 0000000053D4: D3F30014 1C521944
	buffer_load_dwordx4 a[48:51], v225, s[12:15], 0 offen offset:2048// 0000000053DC: E05C1800 808330E1
	v_mfma_f32_16x16x32_fp8_fp8 v[20:23], a[70:71], a[14:15], v[20:23]// 0000000053E4: D3F30014 1C521D46
	v_mfma_f32_16x16x32_fp8_fp8 v[24:27], a[72:73], a[8:9], 0  // 0000000053EC: D3F30018 1A021148
	v_mfma_f32_16x16x32_fp8_fp8 v[24:27], a[74:75], a[10:11], v[24:27]// 0000000053F4: D3F30018 1C62154A
	v_mfma_f32_16x16x32_fp8_fp8 v[24:27], a[76:77], a[12:13], v[24:27]// 0000000053FC: D3F30018 1C62194C
	buffer_load_dwordx4 a[52:55], v226, s[12:15], 0 offen offset:2048// 000000005404: E05C1800 808334E2
	v_mfma_f32_16x16x32_fp8_fp8 v[24:27], a[78:79], a[14:15], v[24:27]// 00000000540C: D3F30018 1C621D4E
	v_mfma_f32_16x16x32_fp8_fp8 v[28:31], a[80:81], a[8:9], 0  // 000000005414: D3F3001C 1A021150
	v_mfma_f32_16x16x32_fp8_fp8 v[28:31], a[82:83], a[10:11], v[28:31]// 00000000541C: D3F3001C 1C721552
	v_mfma_f32_16x16x32_fp8_fp8 v[28:31], a[84:85], a[12:13], v[28:31]// 000000005424: D3F3001C 1C721954
	buffer_load_dwordx4 a[56:59], v225, s[12:15], 0 offen offset:3072// 00000000542C: E05C1C00 808338E1
	v_mfma_f32_16x16x32_fp8_fp8 v[28:31], a[86:87], a[14:15], v[28:31]// 000000005434: D3F3001C 1C721D56
	v_mfma_f32_16x16x32_fp8_fp8 v[32:35], a[88:89], a[8:9], 0  // 00000000543C: D3F30020 1A021158
	v_mfma_f32_16x16x32_fp8_fp8 v[32:35], a[90:91], a[10:11], v[32:35]// 000000005444: D3F30020 1C82155A
	v_mfma_f32_16x16x32_fp8_fp8 v[32:35], a[92:93], a[12:13], v[32:35]// 00000000544C: D3F30020 1C82195C
	buffer_load_dwordx4 a[60:63], v226, s[12:15], 0 offen offset:3072// 000000005454: E05C1C00 80833CE2
	v_mfma_f32_16x16x32_fp8_fp8 v[32:35], a[94:95], a[14:15], v[32:35]// 00000000545C: D3F30020 1C821D5E
	v_mfma_f32_16x16x32_fp8_fp8 v[36:39], a[64:65], a[16:17], 0// 000000005464: D3F30024 1A022140
	v_mfma_f32_16x16x32_fp8_fp8 v[36:39], a[66:67], a[18:19], v[36:39]// 00000000546C: D3F30024 1C922542
	v_mfma_f32_16x16x32_fp8_fp8 v[36:39], a[68:69], a[20:21], v[36:39]// 000000005474: D3F30024 1C922944
	v_mfma_f32_16x16x32_fp8_fp8 v[36:39], a[70:71], a[22:23], v[36:39]// 00000000547C: D3F30024 1C922D46
	v_mfma_f32_16x16x32_fp8_fp8 v[40:43], a[72:73], a[16:17], 0// 000000005484: D3F30028 1A022148
	v_mfma_f32_16x16x32_fp8_fp8 v[40:43], a[74:75], a[18:19], v[40:43]// 00000000548C: D3F30028 1CA2254A
	v_mfma_f32_16x16x32_fp8_fp8 v[40:43], a[76:77], a[20:21], v[40:43]// 000000005494: D3F30028 1CA2294C
	v_mfma_f32_16x16x32_fp8_fp8 v[40:43], a[78:79], a[22:23], v[40:43]// 00000000549C: D3F30028 1CA22D4E
	v_mfma_f32_16x16x32_fp8_fp8 v[44:47], a[80:81], a[16:17], 0// 0000000054A4: D3F3002C 1A022150
	v_mfma_f32_16x16x32_fp8_fp8 v[44:47], a[82:83], a[18:19], v[44:47]// 0000000054AC: D3F3002C 1CB22552
	v_mfma_f32_16x16x32_fp8_fp8 v[44:47], a[84:85], a[20:21], v[44:47]// 0000000054B4: D3F3002C 1CB22954
	v_mfma_f32_16x16x32_fp8_fp8 v[44:47], a[86:87], a[22:23], v[44:47]// 0000000054BC: D3F3002C 1CB22D56
	v_mfma_f32_16x16x32_fp8_fp8 v[48:51], a[88:89], a[16:17], 0// 0000000054C4: D3F30030 1A022158
	v_mfma_f32_16x16x32_fp8_fp8 v[48:51], a[90:91], a[18:19], v[48:51]// 0000000054CC: D3F30030 1CC2255A
	v_mfma_f32_16x16x32_fp8_fp8 v[48:51], a[92:93], a[20:21], v[48:51]// 0000000054D4: D3F30030 1CC2295C
	v_mfma_f32_16x16x32_fp8_fp8 v[48:51], a[94:95], a[22:23], v[48:51]// 0000000054DC: D3F30030 1CC22D5E
	v_mfma_f32_16x16x32_fp8_fp8 v[52:55], a[64:65], a[24:25], 0// 0000000054E4: D3F30034 1A023140
	v_mfma_f32_16x16x32_fp8_fp8 v[52:55], a[66:67], a[26:27], v[52:55]// 0000000054EC: D3F30034 1CD23542
	v_mfma_f32_16x16x32_fp8_fp8 v[52:55], a[68:69], a[28:29], v[52:55]// 0000000054F4: D3F30034 1CD23944
	v_mfma_f32_16x16x32_fp8_fp8 v[52:55], a[70:71], a[30:31], v[52:55]// 0000000054FC: D3F30034 1CD23D46
	v_mfma_f32_16x16x32_fp8_fp8 v[56:59], a[72:73], a[24:25], 0// 000000005504: D3F30038 1A023148
	v_mfma_f32_16x16x32_fp8_fp8 v[56:59], a[74:75], a[26:27], v[56:59]// 00000000550C: D3F30038 1CE2354A
	v_mfma_f32_16x16x32_fp8_fp8 v[56:59], a[76:77], a[28:29], v[56:59]// 000000005514: D3F30038 1CE2394C
	v_mfma_f32_16x16x32_fp8_fp8 v[56:59], a[78:79], a[30:31], v[56:59]// 00000000551C: D3F30038 1CE23D4E
	v_mfma_f32_16x16x32_fp8_fp8 v[60:63], a[80:81], a[24:25], 0// 000000005524: D3F3003C 1A023150
	v_mfma_f32_16x16x32_fp8_fp8 v[60:63], a[82:83], a[26:27], v[60:63]// 00000000552C: D3F3003C 1CF23552
	v_mfma_f32_16x16x32_fp8_fp8 v[60:63], a[84:85], a[28:29], v[60:63]// 000000005534: D3F3003C 1CF23954
	v_mfma_f32_16x16x32_fp8_fp8 v[60:63], a[86:87], a[30:31], v[60:63]// 00000000553C: D3F3003C 1CF23D56
	v_mfma_f32_16x16x32_fp8_fp8 v[64:67], a[88:89], a[24:25], 0// 000000005544: D3F30040 1A023158
	v_mfma_f32_16x16x32_fp8_fp8 v[64:67], a[90:91], a[26:27], v[64:67]// 00000000554C: D3F30040 1D02355A
	v_mfma_f32_16x16x32_fp8_fp8 v[64:67], a[92:93], a[28:29], v[64:67]// 000000005554: D3F30040 1D02395C
	v_mfma_f32_16x16x32_fp8_fp8 v[64:67], a[94:95], a[30:31], v[64:67]// 00000000555C: D3F30040 1D023D5E
	s_waitcnt vmcnt(16)                                        // 000000005564: BF8C4F70
	v_pk_mul_f32 v[4:5], v[132:133], v[4:5]                    // 000000005568: D3B14004 18020984
	v_pk_mul_f32 v[6:7], v[132:133], v[6:7]                    // 000000005570: D3B14006 18020D84
	v_mul_f32_dpp v4, v141, v4 row_newbcast:0 row_mask:0xf bank_mask:0xf// 000000005578: 0A0808FA FF01508D
	v_mul_f32_dpp v5, v141, v5 row_newbcast:1 row_mask:0xf bank_mask:0xf// 000000005580: 0A0A0AFA FF01518D
	v_mul_f32_dpp v6, v141, v6 row_newbcast:2 row_mask:0xf bank_mask:0xf// 000000005588: 0A0C0CFA FF01528D
	v_mul_f32_dpp v7, v141, v7 row_newbcast:3 row_mask:0xf bank_mask:0xf// 000000005590: 0A0E0EFA FF01538D
	v_pk_mul_f32 v[8:9], v[132:133], v[8:9]                    // 000000005598: D3B14008 18021184
	v_pk_mul_f32 v[10:11], v[132:133], v[10:11]                // 0000000055A0: D3B1400A 18021584
	v_mul_f32_dpp v8, v141, v8 row_newbcast:4 row_mask:0xf bank_mask:0xf// 0000000055A8: 0A1010FA FF01548D
	v_mul_f32_dpp v9, v141, v9 row_newbcast:5 row_mask:0xf bank_mask:0xf// 0000000055B0: 0A1212FA FF01558D
	v_mul_f32_dpp v10, v141, v10 row_newbcast:6 row_mask:0xf bank_mask:0xf// 0000000055B8: 0A1414FA FF01568D
	v_mul_f32_dpp v11, v141, v11 row_newbcast:7 row_mask:0xf bank_mask:0xf// 0000000055C0: 0A1616FA FF01578D
	v_pk_mul_f32 v[12:13], v[132:133], v[12:13]                // 0000000055C8: D3B1400C 18021984
	v_pk_mul_f32 v[14:15], v[132:133], v[14:15]                // 0000000055D0: D3B1400E 18021D84
	v_mul_f32_dpp v12, v141, v12 row_newbcast:8 row_mask:0xf bank_mask:0xf// 0000000055D8: 0A1818FA FF01588D
	v_mul_f32_dpp v13, v141, v13 row_newbcast:9 row_mask:0xf bank_mask:0xf// 0000000055E0: 0A1A1AFA FF01598D
	v_mul_f32_dpp v14, v141, v14 row_newbcast:10 row_mask:0xf bank_mask:0xf// 0000000055E8: 0A1C1CFA FF015A8D
	v_mul_f32_dpp v15, v141, v15 row_newbcast:11 row_mask:0xf bank_mask:0xf// 0000000055F0: 0A1E1EFA FF015B8D
	v_pk_mul_f32 v[16:17], v[132:133], v[16:17]                // 0000000055F8: D3B14010 18022184
	v_pk_mul_f32 v[18:19], v[132:133], v[18:19]                // 000000005600: D3B14012 18022584
	v_mul_f32_dpp v16, v141, v16 row_newbcast:12 row_mask:0xf bank_mask:0xf// 000000005608: 0A2020FA FF015C8D
	v_mul_f32_dpp v17, v141, v17 row_newbcast:13 row_mask:0xf bank_mask:0xf// 000000005610: 0A2222FA FF015D8D
	v_mul_f32_dpp v18, v141, v18 row_newbcast:14 row_mask:0xf bank_mask:0xf// 000000005618: 0A2424FA FF015E8D
	v_mul_f32_dpp v19, v141, v19 row_newbcast:15 row_mask:0xf bank_mask:0xf// 000000005620: 0A2626FA FF015F8D
	v_pk_mul_f32 v[20:21], v[134:135], v[20:21]                // 000000005628: D3B14014 18022986
	v_pk_mul_f32 v[22:23], v[134:135], v[22:23]                // 000000005630: D3B14016 18022D86
	v_mul_f32_dpp v20, v141, v20 row_newbcast:0 row_mask:0xf bank_mask:0xf// 000000005638: 0A2828FA FF01508D
	v_mul_f32_dpp v21, v141, v21 row_newbcast:1 row_mask:0xf bank_mask:0xf// 000000005640: 0A2A2AFA FF01518D
	v_mul_f32_dpp v22, v141, v22 row_newbcast:2 row_mask:0xf bank_mask:0xf// 000000005648: 0A2C2CFA FF01528D
	v_mul_f32_dpp v23, v141, v23 row_newbcast:3 row_mask:0xf bank_mask:0xf// 000000005650: 0A2E2EFA FF01538D
	v_pk_mul_f32 v[24:25], v[134:135], v[24:25]                // 000000005658: D3B14018 18023186
	v_pk_mul_f32 v[26:27], v[134:135], v[26:27]                // 000000005660: D3B1401A 18023586
	v_mul_f32_dpp v24, v141, v24 row_newbcast:4 row_mask:0xf bank_mask:0xf// 000000005668: 0A3030FA FF01548D
	v_mul_f32_dpp v25, v141, v25 row_newbcast:5 row_mask:0xf bank_mask:0xf// 000000005670: 0A3232FA FF01558D
	v_mul_f32_dpp v26, v141, v26 row_newbcast:6 row_mask:0xf bank_mask:0xf// 000000005678: 0A3434FA FF01568D
	v_mul_f32_dpp v27, v141, v27 row_newbcast:7 row_mask:0xf bank_mask:0xf// 000000005680: 0A3636FA FF01578D
	v_pk_mul_f32 v[28:29], v[134:135], v[28:29]                // 000000005688: D3B1401C 18023986
	v_pk_mul_f32 v[30:31], v[134:135], v[30:31]                // 000000005690: D3B1401E 18023D86
	v_mul_f32_dpp v28, v141, v28 row_newbcast:8 row_mask:0xf bank_mask:0xf// 000000005698: 0A3838FA FF01588D
	v_mul_f32_dpp v29, v141, v29 row_newbcast:9 row_mask:0xf bank_mask:0xf// 0000000056A0: 0A3A3AFA FF01598D
	v_mul_f32_dpp v30, v141, v30 row_newbcast:10 row_mask:0xf bank_mask:0xf// 0000000056A8: 0A3C3CFA FF015A8D
	v_mul_f32_dpp v31, v141, v31 row_newbcast:11 row_mask:0xf bank_mask:0xf// 0000000056B0: 0A3E3EFA FF015B8D
	v_pk_mul_f32 v[32:33], v[134:135], v[32:33]                // 0000000056B8: D3B14020 18024186
	v_pk_mul_f32 v[34:35], v[134:135], v[34:35]                // 0000000056C0: D3B14022 18024586
	v_mul_f32_dpp v32, v141, v32 row_newbcast:12 row_mask:0xf bank_mask:0xf// 0000000056C8: 0A4040FA FF015C8D
	v_mul_f32_dpp v33, v141, v33 row_newbcast:13 row_mask:0xf bank_mask:0xf// 0000000056D0: 0A4242FA FF015D8D
	v_mul_f32_dpp v34, v141, v34 row_newbcast:14 row_mask:0xf bank_mask:0xf// 0000000056D8: 0A4444FA FF015E8D
	v_mul_f32_dpp v35, v141, v35 row_newbcast:15 row_mask:0xf bank_mask:0xf// 0000000056E0: 0A4646FA FF015F8D
	v_pk_mul_f32 v[36:37], v[136:137], v[36:37]                // 0000000056E8: D3B14024 18024988
	v_pk_mul_f32 v[38:39], v[136:137], v[38:39]                // 0000000056F0: D3B14026 18024D88
	v_mul_f32_dpp v36, v141, v36 row_newbcast:0 row_mask:0xf bank_mask:0xf// 0000000056F8: 0A4848FA FF01508D
	v_mul_f32_dpp v37, v141, v37 row_newbcast:1 row_mask:0xf bank_mask:0xf// 000000005700: 0A4A4AFA FF01518D
	v_mul_f32_dpp v38, v141, v38 row_newbcast:2 row_mask:0xf bank_mask:0xf// 000000005708: 0A4C4CFA FF01528D
	v_mul_f32_dpp v39, v141, v39 row_newbcast:3 row_mask:0xf bank_mask:0xf// 000000005710: 0A4E4EFA FF01538D
	v_pk_mul_f32 v[40:41], v[136:137], v[40:41]                // 000000005718: D3B14028 18025188
	v_pk_mul_f32 v[42:43], v[136:137], v[42:43]                // 000000005720: D3B1402A 18025588
	v_mul_f32_dpp v40, v141, v40 row_newbcast:4 row_mask:0xf bank_mask:0xf// 000000005728: 0A5050FA FF01548D
	v_mul_f32_dpp v41, v141, v41 row_newbcast:5 row_mask:0xf bank_mask:0xf// 000000005730: 0A5252FA FF01558D
	v_mul_f32_dpp v42, v141, v42 row_newbcast:6 row_mask:0xf bank_mask:0xf// 000000005738: 0A5454FA FF01568D
	v_mul_f32_dpp v43, v141, v43 row_newbcast:7 row_mask:0xf bank_mask:0xf// 000000005740: 0A5656FA FF01578D
	v_pk_mul_f32 v[44:45], v[136:137], v[44:45]                // 000000005748: D3B1402C 18025988
	v_pk_mul_f32 v[46:47], v[136:137], v[46:47]                // 000000005750: D3B1402E 18025D88
	v_mul_f32_dpp v44, v141, v44 row_newbcast:8 row_mask:0xf bank_mask:0xf// 000000005758: 0A5858FA FF01588D
	v_mul_f32_dpp v45, v141, v45 row_newbcast:9 row_mask:0xf bank_mask:0xf// 000000005760: 0A5A5AFA FF01598D
	v_mul_f32_dpp v46, v141, v46 row_newbcast:10 row_mask:0xf bank_mask:0xf// 000000005768: 0A5C5CFA FF015A8D
	v_mul_f32_dpp v47, v141, v47 row_newbcast:11 row_mask:0xf bank_mask:0xf// 000000005770: 0A5E5EFA FF015B8D
	v_pk_mul_f32 v[48:49], v[136:137], v[48:49]                // 000000005778: D3B14030 18026188
	v_pk_mul_f32 v[50:51], v[136:137], v[50:51]                // 000000005780: D3B14032 18026588
	v_mul_f32_dpp v48, v141, v48 row_newbcast:12 row_mask:0xf bank_mask:0xf// 000000005788: 0A6060FA FF015C8D
	v_mul_f32_dpp v49, v141, v49 row_newbcast:13 row_mask:0xf bank_mask:0xf// 000000005790: 0A6262FA FF015D8D
	v_mul_f32_dpp v50, v141, v50 row_newbcast:14 row_mask:0xf bank_mask:0xf// 000000005798: 0A6464FA FF015E8D
	v_mul_f32_dpp v51, v141, v51 row_newbcast:15 row_mask:0xf bank_mask:0xf// 0000000057A0: 0A6666FA FF015F8D
	v_pk_mul_f32 v[52:53], v[138:139], v[52:53]                // 0000000057A8: D3B14034 1802698A
	v_pk_mul_f32 v[54:55], v[138:139], v[54:55]                // 0000000057B0: D3B14036 18026D8A
	v_mul_f32_dpp v52, v141, v52 row_newbcast:0 row_mask:0xf bank_mask:0xf// 0000000057B8: 0A6868FA FF01508D
	v_mul_f32_dpp v53, v141, v53 row_newbcast:1 row_mask:0xf bank_mask:0xf// 0000000057C0: 0A6A6AFA FF01518D
	v_mul_f32_dpp v54, v141, v54 row_newbcast:2 row_mask:0xf bank_mask:0xf// 0000000057C8: 0A6C6CFA FF01528D
	v_mul_f32_dpp v55, v141, v55 row_newbcast:3 row_mask:0xf bank_mask:0xf// 0000000057D0: 0A6E6EFA FF01538D
	v_pk_mul_f32 v[56:57], v[138:139], v[56:57]                // 0000000057D8: D3B14038 1802718A
	v_pk_mul_f32 v[58:59], v[138:139], v[58:59]                // 0000000057E0: D3B1403A 1802758A
	v_mul_f32_dpp v56, v141, v56 row_newbcast:4 row_mask:0xf bank_mask:0xf// 0000000057E8: 0A7070FA FF01548D
	v_mul_f32_dpp v57, v141, v57 row_newbcast:5 row_mask:0xf bank_mask:0xf// 0000000057F0: 0A7272FA FF01558D
	v_mul_f32_dpp v58, v141, v58 row_newbcast:6 row_mask:0xf bank_mask:0xf// 0000000057F8: 0A7474FA FF01568D
	v_mul_f32_dpp v59, v141, v59 row_newbcast:7 row_mask:0xf bank_mask:0xf// 000000005800: 0A7676FA FF01578D
	v_pk_mul_f32 v[60:61], v[138:139], v[60:61]                // 000000005808: D3B1403C 1802798A
	v_pk_mul_f32 v[62:63], v[138:139], v[62:63]                // 000000005810: D3B1403E 18027D8A
	v_mul_f32_dpp v60, v141, v60 row_newbcast:8 row_mask:0xf bank_mask:0xf// 000000005818: 0A7878FA FF01588D
	v_mul_f32_dpp v61, v141, v61 row_newbcast:9 row_mask:0xf bank_mask:0xf// 000000005820: 0A7A7AFA FF01598D
	v_mul_f32_dpp v62, v141, v62 row_newbcast:10 row_mask:0xf bank_mask:0xf// 000000005828: 0A7C7CFA FF015A8D
	v_mul_f32_dpp v63, v141, v63 row_newbcast:11 row_mask:0xf bank_mask:0xf// 000000005830: 0A7E7EFA FF015B8D
	v_pk_mul_f32 v[64:65], v[138:139], v[64:65]                // 000000005838: D3B14040 1802818A
	v_pk_mul_f32 v[66:67], v[138:139], v[66:67]                // 000000005840: D3B14042 1802858A
	v_mul_f32_dpp v64, v141, v64 row_newbcast:12 row_mask:0xf bank_mask:0xf// 000000005848: 0A8080FA FF015C8D
	v_mul_f32_dpp v65, v141, v65 row_newbcast:13 row_mask:0xf bank_mask:0xf// 000000005850: 0A8282FA FF015D8D
	v_mul_f32_dpp v66, v141, v66 row_newbcast:14 row_mask:0xf bank_mask:0xf// 000000005858: 0A8484FA FF015E8D
	v_mul_f32_dpp v67, v141, v67 row_newbcast:15 row_mask:0xf bank_mask:0xf// 000000005860: 0A8686FA FF015F8D
	v_mov_b32_e32 v176, v4                                     // 000000005868: 7F600304
	v_max3_f32 v176, v4, v5, v176                              // 00000000586C: D1D300B0 06C20B04
	v_max3_f32 v176, v6, v7, v176                              // 000000005874: D1D300B0 06C20F06
	v_max3_f32 v176, v8, v9, v176                              // 00000000587C: D1D300B0 06C21308
	v_max3_f32 v176, v10, v11, v176                            // 000000005884: D1D300B0 06C2170A
	v_max3_f32 v176, v12, v13, v176                            // 00000000588C: D1D300B0 06C21B0C
	v_max3_f32 v176, v14, v15, v176                            // 000000005894: D1D300B0 06C21F0E
	v_max3_f32 v176, v16, v17, v176                            // 00000000589C: D1D300B0 06C22310
	v_max3_f32 v176, v18, v19, v176                            // 0000000058A4: D1D300B0 06C22712
	v_mov_b32_e32 v177, v20                                    // 0000000058AC: 7F620314
	v_max3_f32 v177, v20, v21, v177                            // 0000000058B0: D1D300B1 06C62B14
	v_max3_f32 v177, v22, v23, v177                            // 0000000058B8: D1D300B1 06C62F16
	v_max3_f32 v177, v24, v25, v177                            // 0000000058C0: D1D300B1 06C63318
	v_max3_f32 v177, v26, v27, v177                            // 0000000058C8: D1D300B1 06C6371A
	v_max3_f32 v177, v28, v29, v177                            // 0000000058D0: D1D300B1 06C63B1C
	v_max3_f32 v177, v30, v31, v177                            // 0000000058D8: D1D300B1 06C63F1E
	v_max3_f32 v177, v32, v33, v177                            // 0000000058E0: D1D300B1 06C64320
	v_max3_f32 v177, v34, v35, v177                            // 0000000058E8: D1D300B1 06C64722
	v_mov_b32_e32 v178, v36                                    // 0000000058F0: 7F640324
	v_max3_f32 v178, v36, v37, v178                            // 0000000058F4: D1D300B2 06CA4B24
	v_max3_f32 v178, v38, v39, v178                            // 0000000058FC: D1D300B2 06CA4F26
	v_max3_f32 v178, v40, v41, v178                            // 000000005904: D1D300B2 06CA5328
	v_max3_f32 v178, v42, v43, v178                            // 00000000590C: D1D300B2 06CA572A
	v_max3_f32 v178, v44, v45, v178                            // 000000005914: D1D300B2 06CA5B2C
	v_max3_f32 v178, v46, v47, v178                            // 00000000591C: D1D300B2 06CA5F2E
	v_max3_f32 v178, v48, v49, v178                            // 000000005924: D1D300B2 06CA6330
	v_max3_f32 v178, v50, v51, v178                            // 00000000592C: D1D300B2 06CA6732
	v_mov_b32_e32 v179, v52                                    // 000000005934: 7F660334
	v_max3_f32 v179, v52, v53, v179                            // 000000005938: D1D300B3 06CE6B34
	v_max3_f32 v179, v54, v55, v179                            // 000000005940: D1D300B3 06CE6F36
	v_max3_f32 v179, v56, v57, v179                            // 000000005948: D1D300B3 06CE7338
	v_max3_f32 v179, v58, v59, v179                            // 000000005950: D1D300B3 06CE773A
	v_max3_f32 v179, v60, v61, v179                            // 000000005958: D1D300B3 06CE7B3C
	v_max3_f32 v179, v62, v63, v179                            // 000000005960: D1D300B3 06CE7F3E
	v_max3_f32 v179, v64, v65, v179                            // 000000005968: D1D300B3 06CE8340
	v_max3_f32 v179, v66, v67, v179                            // 000000005970: D1D300B3 06CE8742
	ds_bpermute_b32 v180, v200, v176                           // 000000005978: D87E0000 B400B0C8
	ds_bpermute_b32 v181, v201, v176                           // 000000005980: D87E0000 B500B0C9
	ds_bpermute_b32 v182, v202, v176                           // 000000005988: D87E0000 B600B0CA
	ds_bpermute_b32 v183, v200, v177                           // 000000005990: D87E0000 B700B1C8
	ds_bpermute_b32 v184, v201, v177                           // 000000005998: D87E0000 B800B1C9
	ds_bpermute_b32 v185, v202, v177                           // 0000000059A0: D87E0000 B900B1CA
	ds_bpermute_b32 v186, v200, v178                           // 0000000059A8: D87E0000 BA00B2C8
	ds_bpermute_b32 v187, v201, v178                           // 0000000059B0: D87E0000 BB00B2C9
	ds_bpermute_b32 v188, v202, v178                           // 0000000059B8: D87E0000 BC00B2CA
	ds_bpermute_b32 v189, v200, v179                           // 0000000059C0: D87E0000 BD00B3C8
	ds_bpermute_b32 v190, v201, v179                           // 0000000059C8: D87E0000 BE00B3C9
	ds_bpermute_b32 v191, v202, v179                           // 0000000059D0: D87E0000 BF00B3CA
	v_pk_mul_f32 v[100:101], v[160:161], v[100:101]            // 0000000059D8: D3B14064 1802C9A0
	v_pk_mul_f32 v[102:103], v[160:161], v[102:103]            // 0000000059E0: D3B14066 1802CDA0
	v_pk_mul_f32 v[104:105], v[160:161], v[104:105]            // 0000000059E8: D3B14068 1802D1A0
	v_pk_mul_f32 v[106:107], v[160:161], v[106:107]            // 0000000059F0: D3B1406A 1802D5A0
	v_pk_mul_f32 v[108:109], v[162:163], v[108:109]            // 0000000059F8: D3B1406C 1802D9A2
	v_pk_mul_f32 v[110:111], v[162:163], v[110:111]            // 000000005A00: D3B1406E 1802DDA2
	v_pk_mul_f32 v[112:113], v[162:163], v[112:113]            // 000000005A08: D3B14070 1802E1A2
	v_pk_mul_f32 v[114:115], v[162:163], v[114:115]            // 000000005A10: D3B14072 1802E5A2
	v_pk_mul_f32 v[116:117], v[164:165], v[116:117]            // 000000005A18: D3B14074 1802E9A4
	v_pk_mul_f32 v[118:119], v[164:165], v[118:119]            // 000000005A20: D3B14076 1802EDA4
	v_pk_mul_f32 v[120:121], v[164:165], v[120:121]            // 000000005A28: D3B14078 1802F1A4
	v_pk_mul_f32 v[122:123], v[164:165], v[122:123]            // 000000005A30: D3B1407A 1802F5A4
	v_pk_mul_f32 v[124:125], v[166:167], v[124:125]            // 000000005A38: D3B1407C 1802F9A6
	v_pk_mul_f32 v[126:127], v[166:167], v[126:127]            // 000000005A40: D3B1407E 1802FDA6
	v_pk_mul_f32 v[128:129], v[166:167], v[128:129]            // 000000005A48: D3B14080 180301A6
	v_pk_mul_f32 v[130:131], v[166:167], v[130:131]            // 000000005A50: D3B14082 180305A6
	s_waitcnt lgkmcnt(9)                                       // 000000005A58: BF8CC97F
	v_max3_f32 v176, v180, v181, v176                          // 000000005A5C: D1D300B0 06C36BB4
	v_max_f32_e32 v176, v182, v176                             // 000000005A64: 176161B6
	s_waitcnt lgkmcnt(6)                                       // 000000005A68: BF8CC67F
	v_max3_f32 v177, v183, v184, v177                          // 000000005A6C: D1D300B1 06C771B7
	v_max_f32_e32 v177, v185, v177                             // 000000005A74: 176363B9
	s_waitcnt lgkmcnt(3)                                       // 000000005A78: BF8CC37F
	v_max3_f32 v178, v186, v187, v178                          // 000000005A7C: D1D300B2 06CB77BA
	v_max_f32_e32 v178, v188, v178                             // 000000005A84: 176565BC
	s_waitcnt lgkmcnt(0)                                       // 000000005A88: BF8CC07F
	v_max3_f32 v179, v189, v190, v179                          // 000000005A8C: D1D300B3 06CF7DBD
	v_max_f32_e32 v179, v191, v179                             // 000000005A94: 176767BF
	ds_write_b128 v247, v[176:179]                             // 000000005A98: D9BE0000 0000B0F7
	s_waitcnt lgkmcnt(0)                                       // 000000005AA0: BF8CC07F
	s_barrier                                                  // 000000005AA4: BF8A0000
	ds_read_b128 v[180:183], v248                              // 000000005AA8: D9FE0000 B40000F8
	ds_read_b128 v[184:187], v248 offset:256                   // 000000005AB0: D9FE0100 B80000F8
	ds_read_b128 v[188:191], v248 offset:512                   // 000000005AB8: D9FE0200 BC0000F8
	ds_read_b128 v[192:195], v248 offset:768                   // 000000005AC0: D9FE0300 C00000F8
	v_pk_mul_f32 v[68:69], v[144:145], v[68:69]                // 000000005AC8: D3B14044 18028990
	v_pk_mul_f32 v[70:71], v[144:145], v[70:71]                // 000000005AD0: D3B14046 18028D90
	v_pk_mul_f32 v[72:73], v[144:145], v[72:73]                // 000000005AD8: D3B14048 18029190
	v_pk_mul_f32 v[74:75], v[144:145], v[74:75]                // 000000005AE0: D3B1404A 18029590
	v_pk_mul_f32 v[76:77], v[146:147], v[76:77]                // 000000005AE8: D3B1404C 18029992
	v_pk_mul_f32 v[78:79], v[146:147], v[78:79]                // 000000005AF0: D3B1404E 18029D92
	v_pk_mul_f32 v[80:81], v[146:147], v[80:81]                // 000000005AF8: D3B14050 1802A192
	v_pk_mul_f32 v[82:83], v[146:147], v[82:83]                // 000000005B00: D3B14052 1802A592
	v_pk_mul_f32 v[84:85], v[148:149], v[84:85]                // 000000005B08: D3B14054 1802A994
	v_pk_mul_f32 v[86:87], v[148:149], v[86:87]                // 000000005B10: D3B14056 1802AD94
	v_pk_mul_f32 v[88:89], v[148:149], v[88:89]                // 000000005B18: D3B14058 1802B194
	v_pk_mul_f32 v[90:91], v[148:149], v[90:91]                // 000000005B20: D3B1405A 1802B594
	v_pk_mul_f32 v[92:93], v[150:151], v[92:93]                // 000000005B28: D3B1405C 1802B996
	v_pk_mul_f32 v[94:95], v[150:151], v[94:95]                // 000000005B30: D3B1405E 1802BD96
	v_pk_mul_f32 v[96:97], v[150:151], v[96:97]                // 000000005B38: D3B14060 1802C196
	v_pk_mul_f32 v[98:99], v[150:151], v[98:99]                // 000000005B40: D3B14062 1802C596
	s_waitcnt lgkmcnt(0)                                       // 000000005B48: BF8CC07F
	v_max3_f32 v176, v180, v184, v176                          // 000000005B4C: D1D300B0 06C371B4
	v_max3_f32 v177, v181, v185, v177                          // 000000005B54: D1D300B1 06C773B5
	v_max3_f32 v178, v182, v186, v178                          // 000000005B5C: D1D300B2 06CB75B6
	v_max3_f32 v179, v183, v187, v179                          // 000000005B64: D1D300B3 06CF77B7
	v_max3_f32 v176, v188, v192, v176                          // 000000005B6C: D1D300B0 06C381BC
	v_max3_f32 v177, v189, v193, v177                          // 000000005B74: D1D300B1 06C783BD
	v_max3_f32 v178, v190, v194, v178                          // 000000005B7C: D1D300B2 06CB85BE
	v_max3_f32 v179, v191, v195, v179                          // 000000005B84: D1D300B3 06CF87BF
	v_max_f32_e32 v156, v176, v152                             // 000000005B8C: 173931B0
	v_mul_f32_e64 v196, -s46, v156                             // 000000005B90: D10500C4 2003382E
	v_mov_b32_e32 v197, v196                                   // 000000005B98: 7F8A03C4
	v_pk_fma_f32 v[4:5], v[4:5], s[46:47], v[196:197]          // 000000005B9C: D3B04004 1F105D04
	v_pk_fma_f32 v[6:7], v[6:7], s[46:47], v[196:197]          // 000000005BA4: D3B04006 1F105D06
	v_exp_f32_e32 v4, v4                                       // 000000005BAC: 7E084104
	v_exp_f32_e32 v5, v5                                       // 000000005BB0: 7E0A4105
	v_exp_f32_e32 v6, v6                                       // 000000005BB4: 7E0C4106
	v_exp_f32_e32 v7, v7                                       // 000000005BB8: 7E0E4107
	v_pk_fma_f32 v[8:9], v[8:9], s[46:47], v[196:197]          // 000000005BBC: D3B04008 1F105D08
	v_pk_fma_f32 v[10:11], v[10:11], s[46:47], v[196:197]      // 000000005BC4: D3B0400A 1F105D0A
	v_exp_f32_e32 v8, v8                                       // 000000005BCC: 7E104108
	v_exp_f32_e32 v9, v9                                       // 000000005BD0: 7E124109
	v_exp_f32_e32 v10, v10                                     // 000000005BD4: 7E14410A
	v_exp_f32_e32 v11, v11                                     // 000000005BD8: 7E16410B
	v_pk_fma_f32 v[12:13], v[12:13], s[46:47], v[196:197]      // 000000005BDC: D3B0400C 1F105D0C
	v_pk_fma_f32 v[14:15], v[14:15], s[46:47], v[196:197]      // 000000005BE4: D3B0400E 1F105D0E
	v_exp_f32_e32 v12, v12                                     // 000000005BEC: 7E18410C
	v_exp_f32_e32 v13, v13                                     // 000000005BF0: 7E1A410D
	v_exp_f32_e32 v14, v14                                     // 000000005BF4: 7E1C410E
	v_exp_f32_e32 v15, v15                                     // 000000005BF8: 7E1E410F
	v_pk_fma_f32 v[16:17], v[16:17], s[46:47], v[196:197]      // 000000005BFC: D3B04010 1F105D10
	v_pk_fma_f32 v[18:19], v[18:19], s[46:47], v[196:197]      // 000000005C04: D3B04012 1F105D12
	v_exp_f32_e32 v16, v16                                     // 000000005C0C: 7E204110
	v_exp_f32_e32 v17, v17                                     // 000000005C10: 7E224111
	v_exp_f32_e32 v18, v18                                     // 000000005C14: 7E244112
	v_exp_f32_e32 v19, v19                                     // 000000005C18: 7E264113
	v_max_f32_e32 v157, v177, v153                             // 000000005C1C: 173B33B1
	v_mul_f32_e64 v196, -s46, v157                             // 000000005C20: D10500C4 20033A2E
	v_mov_b32_e32 v197, v196                                   // 000000005C28: 7F8A03C4
	v_pk_fma_f32 v[20:21], v[20:21], s[46:47], v[196:197]      // 000000005C2C: D3B04014 1F105D14
	v_pk_fma_f32 v[22:23], v[22:23], s[46:47], v[196:197]      // 000000005C34: D3B04016 1F105D16
	v_exp_f32_e32 v20, v20                                     // 000000005C3C: 7E284114
	v_exp_f32_e32 v21, v21                                     // 000000005C40: 7E2A4115
	v_exp_f32_e32 v22, v22                                     // 000000005C44: 7E2C4116
	v_exp_f32_e32 v23, v23                                     // 000000005C48: 7E2E4117
	v_pk_fma_f32 v[24:25], v[24:25], s[46:47], v[196:197]      // 000000005C4C: D3B04018 1F105D18
	v_pk_fma_f32 v[26:27], v[26:27], s[46:47], v[196:197]      // 000000005C54: D3B0401A 1F105D1A
	v_exp_f32_e32 v24, v24                                     // 000000005C5C: 7E304118
	v_exp_f32_e32 v25, v25                                     // 000000005C60: 7E324119
	v_exp_f32_e32 v26, v26                                     // 000000005C64: 7E34411A
	v_exp_f32_e32 v27, v27                                     // 000000005C68: 7E36411B
	v_pk_fma_f32 v[28:29], v[28:29], s[46:47], v[196:197]      // 000000005C6C: D3B0401C 1F105D1C
	v_pk_fma_f32 v[30:31], v[30:31], s[46:47], v[196:197]      // 000000005C74: D3B0401E 1F105D1E
	v_exp_f32_e32 v28, v28                                     // 000000005C7C: 7E38411C
	v_exp_f32_e32 v29, v29                                     // 000000005C80: 7E3A411D
	v_exp_f32_e32 v30, v30                                     // 000000005C84: 7E3C411E
	v_exp_f32_e32 v31, v31                                     // 000000005C88: 7E3E411F
	v_pk_fma_f32 v[32:33], v[32:33], s[46:47], v[196:197]      // 000000005C8C: D3B04020 1F105D20
	v_pk_fma_f32 v[34:35], v[34:35], s[46:47], v[196:197]      // 000000005C94: D3B04022 1F105D22
	v_exp_f32_e32 v32, v32                                     // 000000005C9C: 7E404120
	v_exp_f32_e32 v33, v33                                     // 000000005CA0: 7E424121
	v_exp_f32_e32 v34, v34                                     // 000000005CA4: 7E444122
	v_exp_f32_e32 v35, v35                                     // 000000005CA8: 7E464123
	v_max_f32_e32 v158, v178, v154                             // 000000005CAC: 173D35B2
	v_mul_f32_e64 v196, -s46, v158                             // 000000005CB0: D10500C4 20033C2E
	v_mov_b32_e32 v197, v196                                   // 000000005CB8: 7F8A03C4
	v_pk_fma_f32 v[36:37], v[36:37], s[46:47], v[196:197]      // 000000005CBC: D3B04024 1F105D24
	v_pk_fma_f32 v[38:39], v[38:39], s[46:47], v[196:197]      // 000000005CC4: D3B04026 1F105D26
	v_exp_f32_e32 v36, v36                                     // 000000005CCC: 7E484124
	v_exp_f32_e32 v37, v37                                     // 000000005CD0: 7E4A4125
	v_exp_f32_e32 v38, v38                                     // 000000005CD4: 7E4C4126
	v_exp_f32_e32 v39, v39                                     // 000000005CD8: 7E4E4127
	v_pk_fma_f32 v[40:41], v[40:41], s[46:47], v[196:197]      // 000000005CDC: D3B04028 1F105D28
	v_pk_fma_f32 v[42:43], v[42:43], s[46:47], v[196:197]      // 000000005CE4: D3B0402A 1F105D2A
	v_exp_f32_e32 v40, v40                                     // 000000005CEC: 7E504128
	v_exp_f32_e32 v41, v41                                     // 000000005CF0: 7E524129
	v_exp_f32_e32 v42, v42                                     // 000000005CF4: 7E54412A
	v_exp_f32_e32 v43, v43                                     // 000000005CF8: 7E56412B
	v_pk_fma_f32 v[44:45], v[44:45], s[46:47], v[196:197]      // 000000005CFC: D3B0402C 1F105D2C
	v_pk_fma_f32 v[46:47], v[46:47], s[46:47], v[196:197]      // 000000005D04: D3B0402E 1F105D2E
	v_exp_f32_e32 v44, v44                                     // 000000005D0C: 7E58412C
	v_exp_f32_e32 v45, v45                                     // 000000005D10: 7E5A412D
	v_exp_f32_e32 v46, v46                                     // 000000005D14: 7E5C412E
	v_exp_f32_e32 v47, v47                                     // 000000005D18: 7E5E412F
	v_pk_fma_f32 v[48:49], v[48:49], s[46:47], v[196:197]      // 000000005D1C: D3B04030 1F105D30
	v_pk_fma_f32 v[50:51], v[50:51], s[46:47], v[196:197]      // 000000005D24: D3B04032 1F105D32
	v_exp_f32_e32 v48, v48                                     // 000000005D2C: 7E604130
	v_exp_f32_e32 v49, v49                                     // 000000005D30: 7E624131
	v_exp_f32_e32 v50, v50                                     // 000000005D34: 7E644132
	v_exp_f32_e32 v51, v51                                     // 000000005D38: 7E664133
	v_max_f32_e32 v159, v179, v155                             // 000000005D3C: 173F37B3
	v_mul_f32_e64 v196, -s46, v159                             // 000000005D40: D10500C4 20033E2E
	v_mov_b32_e32 v197, v196                                   // 000000005D48: 7F8A03C4
	v_pk_fma_f32 v[52:53], v[52:53], s[46:47], v[196:197]      // 000000005D4C: D3B04034 1F105D34
	v_pk_fma_f32 v[54:55], v[54:55], s[46:47], v[196:197]      // 000000005D54: D3B04036 1F105D36
	v_exp_f32_e32 v52, v52                                     // 000000005D5C: 7E684134
	v_exp_f32_e32 v53, v53                                     // 000000005D60: 7E6A4135
	v_exp_f32_e32 v54, v54                                     // 000000005D64: 7E6C4136
	v_exp_f32_e32 v55, v55                                     // 000000005D68: 7E6E4137
	v_pk_fma_f32 v[56:57], v[56:57], s[46:47], v[196:197]      // 000000005D6C: D3B04038 1F105D38
	v_pk_fma_f32 v[58:59], v[58:59], s[46:47], v[196:197]      // 000000005D74: D3B0403A 1F105D3A
	v_exp_f32_e32 v56, v56                                     // 000000005D7C: 7E704138
	v_exp_f32_e32 v57, v57                                     // 000000005D80: 7E724139
	v_exp_f32_e32 v58, v58                                     // 000000005D84: 7E74413A
	v_exp_f32_e32 v59, v59                                     // 000000005D88: 7E76413B
	v_pk_fma_f32 v[60:61], v[60:61], s[46:47], v[196:197]      // 000000005D8C: D3B0403C 1F105D3C
	v_pk_fma_f32 v[62:63], v[62:63], s[46:47], v[196:197]      // 000000005D94: D3B0403E 1F105D3E
	v_exp_f32_e32 v60, v60                                     // 000000005D9C: 7E78413C
	v_exp_f32_e32 v61, v61                                     // 000000005DA0: 7E7A413D
	v_exp_f32_e32 v62, v62                                     // 000000005DA4: 7E7C413E
	v_exp_f32_e32 v63, v63                                     // 000000005DA8: 7E7E413F
	v_pk_fma_f32 v[64:65], v[64:65], s[46:47], v[196:197]      // 000000005DAC: D3B04040 1F105D40
	v_pk_fma_f32 v[66:67], v[66:67], s[46:47], v[196:197]      // 000000005DB4: D3B04042 1F105D42
	v_exp_f32_e32 v64, v64                                     // 000000005DBC: 7E804140
	v_exp_f32_e32 v65, v65                                     // 000000005DC0: 7E824141
	v_exp_f32_e32 v66, v66                                     // 000000005DC4: 7E844142
	v_exp_f32_e32 v67, v67                                     // 000000005DC8: 7E864143
	v_sub_f32_e32 v160, v152, v156                             // 000000005DCC: 05413998
	v_cmp_eq_u32_e64 s[98:99], v216, v152                      // 000000005DD0: D0CA0062 000331D8
	v_cndmask_b32_e64 v160, v160, 0, s[98:99]                  // 000000005DD8: D10000A0 018901A0
	v_mov_b32_e32 v152, v156                                   // 000000005DE0: 7F30039C
	v_mul_f32_e32 v160, s46, v160                              // 000000005DE4: 0B41402E
	v_exp_f32_e32 v160, v160                                   // 000000005DE8: 7F4041A0
	v_sub_f32_e32 v162, v153, v157                             // 000000005DEC: 05453B99
	v_cmp_eq_u32_e64 s[98:99], v216, v153                      // 000000005DF0: D0CA0062 000333D8
	v_cndmask_b32_e64 v162, v162, 0, s[98:99]                  // 000000005DF8: D10000A2 018901A2
	v_mov_b32_e32 v153, v157                                   // 000000005E00: 7F32039D
	v_mul_f32_e32 v162, s46, v162                              // 000000005E04: 0B45442E
	v_exp_f32_e32 v162, v162                                   // 000000005E08: 7F4441A2
	v_sub_f32_e32 v164, v154, v158                             // 000000005E0C: 05493D9A
	v_cmp_eq_u32_e64 s[98:99], v216, v154                      // 000000005E10: D0CA0062 000335D8
	v_cndmask_b32_e64 v164, v164, 0, s[98:99]                  // 000000005E18: D10000A4 018901A4
	v_mov_b32_e32 v154, v158                                   // 000000005E20: 7F34039E
	v_mul_f32_e32 v164, s46, v164                              // 000000005E24: 0B49482E
	v_exp_f32_e32 v164, v164                                   // 000000005E28: 7F4841A4
	v_sub_f32_e32 v166, v155, v159                             // 000000005E2C: 054D3F9B
	v_cmp_eq_u32_e64 s[98:99], v216, v155                      // 000000005E30: D0CA0062 000337D8
	v_cndmask_b32_e64 v166, v166, 0, s[98:99]                  // 000000005E38: D10000A6 018901A6
	v_mov_b32_e32 v155, v159                                   // 000000005E40: 7F36039F
	v_mul_f32_e32 v166, s46, v166                              // 000000005E44: 0B4D4C2E
	v_exp_f32_e32 v166, v166                                   // 000000005E48: 7F4C41A6
	v_mov_b32_e32 v161, v160                                   // 000000005E4C: 7F4203A0
	v_mov_b32_e32 v163, v162                                   // 000000005E50: 7F4603A2
	v_mov_b32_e32 v165, v164                                   // 000000005E54: 7F4A03A4
	v_mov_b32_e32 v167, v166                                   // 000000005E58: 7F4E03A6
	v_mul_f32_e32 v168, v160, v168                             // 000000005E5C: 0B5151A0
	v_mov_b32_e32 v169, 0                                      // 000000005E60: 7F520280
	v_pk_add_f32 v[168:169], v[4:5], v[168:169]                // 000000005E64: D3B240A8 18035104
	v_pk_add_f32 v[168:169], v[6:7], v[168:169]                // 000000005E6C: D3B240A8 18035106
	v_pk_add_f32 v[168:169], v[8:9], v[168:169]                // 000000005E74: D3B240A8 18035108
	v_pk_add_f32 v[168:169], v[10:11], v[168:169]              // 000000005E7C: D3B240A8 1803510A
	v_pk_add_f32 v[168:169], v[12:13], v[168:169]              // 000000005E84: D3B240A8 1803510C
	v_pk_add_f32 v[168:169], v[14:15], v[168:169]              // 000000005E8C: D3B240A8 1803510E
	v_pk_add_f32 v[168:169], v[16:17], v[168:169]              // 000000005E94: D3B240A8 18035110
	v_pk_add_f32 v[168:169], v[18:19], v[168:169]              // 000000005E9C: D3B240A8 18035112
	v_add_f32_e32 v168, v169, v168                             // 000000005EA4: 035151A9
	v_mul_f32_e32 v170, v162, v170                             // 000000005EA8: 0B5555A2
	v_mov_b32_e32 v171, 0                                      // 000000005EAC: 7F560280
	v_pk_add_f32 v[170:171], v[20:21], v[170:171]              // 000000005EB0: D3B240AA 18035514
	v_pk_add_f32 v[170:171], v[22:23], v[170:171]              // 000000005EB8: D3B240AA 18035516
	v_pk_add_f32 v[170:171], v[24:25], v[170:171]              // 000000005EC0: D3B240AA 18035518
	v_pk_add_f32 v[170:171], v[26:27], v[170:171]              // 000000005EC8: D3B240AA 1803551A
	v_pk_add_f32 v[170:171], v[28:29], v[170:171]              // 000000005ED0: D3B240AA 1803551C
	v_pk_add_f32 v[170:171], v[30:31], v[170:171]              // 000000005ED8: D3B240AA 1803551E
	v_pk_add_f32 v[170:171], v[32:33], v[170:171]              // 000000005EE0: D3B240AA 18035520
	v_pk_add_f32 v[170:171], v[34:35], v[170:171]              // 000000005EE8: D3B240AA 18035522
	v_add_f32_e32 v170, v171, v170                             // 000000005EF0: 035555AB
	v_mul_f32_e32 v172, v164, v172                             // 000000005EF4: 0B5959A4
	v_mov_b32_e32 v173, 0                                      // 000000005EF8: 7F5A0280
	v_pk_add_f32 v[172:173], v[36:37], v[172:173]              // 000000005EFC: D3B240AC 18035924
	v_pk_add_f32 v[172:173], v[38:39], v[172:173]              // 000000005F04: D3B240AC 18035926
	v_pk_add_f32 v[172:173], v[40:41], v[172:173]              // 000000005F0C: D3B240AC 18035928
	v_pk_add_f32 v[172:173], v[42:43], v[172:173]              // 000000005F14: D3B240AC 1803592A
	v_pk_add_f32 v[172:173], v[44:45], v[172:173]              // 000000005F1C: D3B240AC 1803592C
	v_pk_add_f32 v[172:173], v[46:47], v[172:173]              // 000000005F24: D3B240AC 1803592E
	v_pk_add_f32 v[172:173], v[48:49], v[172:173]              // 000000005F2C: D3B240AC 18035930
	v_pk_add_f32 v[172:173], v[50:51], v[172:173]              // 000000005F34: D3B240AC 18035932
	v_add_f32_e32 v172, v173, v172                             // 000000005F3C: 035959AD
	v_mul_f32_e32 v174, v166, v174                             // 000000005F40: 0B5D5DA6
	v_mov_b32_e32 v175, 0                                      // 000000005F44: 7F5E0280
	v_pk_add_f32 v[174:175], v[52:53], v[174:175]              // 000000005F48: D3B240AE 18035D34
	v_pk_add_f32 v[174:175], v[54:55], v[174:175]              // 000000005F50: D3B240AE 18035D36
	v_pk_add_f32 v[174:175], v[56:57], v[174:175]              // 000000005F58: D3B240AE 18035D38
	v_pk_add_f32 v[174:175], v[58:59], v[174:175]              // 000000005F60: D3B240AE 18035D3A
	v_pk_add_f32 v[174:175], v[60:61], v[174:175]              // 000000005F68: D3B240AE 18035D3C
	v_pk_add_f32 v[174:175], v[62:63], v[174:175]              // 000000005F70: D3B240AE 18035D3E
	v_pk_add_f32 v[174:175], v[64:65], v[174:175]              // 000000005F78: D3B240AE 18035D40
	v_pk_add_f32 v[174:175], v[66:67], v[174:175]              // 000000005F80: D3B240AE 18035D42
	v_add_f32_e32 v174, v175, v174                             // 000000005F88: 035D5DAF
	v_mul_f32_dpp v4, v143, v4 row_newbcast:0 row_mask:0xf bank_mask:0xf// 000000005F8C: 0A0808FA FF01508F
	v_mul_f32_dpp v5, v143, v5 row_newbcast:1 row_mask:0xf bank_mask:0xf// 000000005F94: 0A0A0AFA FF01518F
	v_mul_f32_dpp v6, v143, v6 row_newbcast:2 row_mask:0xf bank_mask:0xf// 000000005F9C: 0A0C0CFA FF01528F
	v_mul_f32_dpp v7, v143, v7 row_newbcast:3 row_mask:0xf bank_mask:0xf// 000000005FA4: 0A0E0EFA FF01538F
	v_mul_f32_dpp v8, v143, v8 row_newbcast:4 row_mask:0xf bank_mask:0xf// 000000005FAC: 0A1010FA FF01548F
	v_mul_f32_dpp v9, v143, v9 row_newbcast:5 row_mask:0xf bank_mask:0xf// 000000005FB4: 0A1212FA FF01558F
	v_mul_f32_dpp v10, v143, v10 row_newbcast:6 row_mask:0xf bank_mask:0xf// 000000005FBC: 0A1414FA FF01568F
	v_mul_f32_dpp v11, v143, v11 row_newbcast:7 row_mask:0xf bank_mask:0xf// 000000005FC4: 0A1616FA FF01578F
	v_mul_f32_dpp v12, v143, v12 row_newbcast:8 row_mask:0xf bank_mask:0xf// 000000005FCC: 0A1818FA FF01588F
	v_mul_f32_dpp v13, v143, v13 row_newbcast:9 row_mask:0xf bank_mask:0xf// 000000005FD4: 0A1A1AFA FF01598F
	v_mul_f32_dpp v14, v143, v14 row_newbcast:10 row_mask:0xf bank_mask:0xf// 000000005FDC: 0A1C1CFA FF015A8F
	v_mul_f32_dpp v15, v143, v15 row_newbcast:11 row_mask:0xf bank_mask:0xf// 000000005FE4: 0A1E1EFA FF015B8F
	v_mul_f32_dpp v16, v143, v16 row_newbcast:12 row_mask:0xf bank_mask:0xf// 000000005FEC: 0A2020FA FF015C8F
	v_mul_f32_dpp v17, v143, v17 row_newbcast:13 row_mask:0xf bank_mask:0xf// 000000005FF4: 0A2222FA FF015D8F
	v_mul_f32_dpp v18, v143, v18 row_newbcast:14 row_mask:0xf bank_mask:0xf// 000000005FFC: 0A2424FA FF015E8F
	v_mul_f32_dpp v19, v143, v19 row_newbcast:15 row_mask:0xf bank_mask:0xf// 000000006004: 0A2626FA FF015F8F
	v_mul_f32_dpp v20, v143, v20 row_newbcast:0 row_mask:0xf bank_mask:0xf// 00000000600C: 0A2828FA FF01508F
	v_mul_f32_dpp v21, v143, v21 row_newbcast:1 row_mask:0xf bank_mask:0xf// 000000006014: 0A2A2AFA FF01518F
	v_mul_f32_dpp v22, v143, v22 row_newbcast:2 row_mask:0xf bank_mask:0xf// 00000000601C: 0A2C2CFA FF01528F
	v_mul_f32_dpp v23, v143, v23 row_newbcast:3 row_mask:0xf bank_mask:0xf// 000000006024: 0A2E2EFA FF01538F
	v_mul_f32_dpp v24, v143, v24 row_newbcast:4 row_mask:0xf bank_mask:0xf// 00000000602C: 0A3030FA FF01548F
	v_mul_f32_dpp v25, v143, v25 row_newbcast:5 row_mask:0xf bank_mask:0xf// 000000006034: 0A3232FA FF01558F
	v_mul_f32_dpp v26, v143, v26 row_newbcast:6 row_mask:0xf bank_mask:0xf// 00000000603C: 0A3434FA FF01568F
	v_mul_f32_dpp v27, v143, v27 row_newbcast:7 row_mask:0xf bank_mask:0xf// 000000006044: 0A3636FA FF01578F
	v_mul_f32_dpp v28, v143, v28 row_newbcast:8 row_mask:0xf bank_mask:0xf// 00000000604C: 0A3838FA FF01588F
	v_mul_f32_dpp v29, v143, v29 row_newbcast:9 row_mask:0xf bank_mask:0xf// 000000006054: 0A3A3AFA FF01598F
	v_mul_f32_dpp v30, v143, v30 row_newbcast:10 row_mask:0xf bank_mask:0xf// 00000000605C: 0A3C3CFA FF015A8F
	v_mul_f32_dpp v31, v143, v31 row_newbcast:11 row_mask:0xf bank_mask:0xf// 000000006064: 0A3E3EFA FF015B8F
	v_mul_f32_dpp v32, v143, v32 row_newbcast:12 row_mask:0xf bank_mask:0xf// 00000000606C: 0A4040FA FF015C8F
	v_mul_f32_dpp v33, v143, v33 row_newbcast:13 row_mask:0xf bank_mask:0xf// 000000006074: 0A4242FA FF015D8F
	v_mul_f32_dpp v34, v143, v34 row_newbcast:14 row_mask:0xf bank_mask:0xf// 00000000607C: 0A4444FA FF015E8F
	v_mul_f32_dpp v35, v143, v35 row_newbcast:15 row_mask:0xf bank_mask:0xf// 000000006084: 0A4646FA FF015F8F
	v_mul_f32_dpp v36, v143, v36 row_newbcast:0 row_mask:0xf bank_mask:0xf// 00000000608C: 0A4848FA FF01508F
	v_mul_f32_dpp v37, v143, v37 row_newbcast:1 row_mask:0xf bank_mask:0xf// 000000006094: 0A4A4AFA FF01518F
	v_mul_f32_dpp v38, v143, v38 row_newbcast:2 row_mask:0xf bank_mask:0xf// 00000000609C: 0A4C4CFA FF01528F
	v_mul_f32_dpp v39, v143, v39 row_newbcast:3 row_mask:0xf bank_mask:0xf// 0000000060A4: 0A4E4EFA FF01538F
	v_mul_f32_dpp v40, v143, v40 row_newbcast:4 row_mask:0xf bank_mask:0xf// 0000000060AC: 0A5050FA FF01548F
	v_mul_f32_dpp v41, v143, v41 row_newbcast:5 row_mask:0xf bank_mask:0xf// 0000000060B4: 0A5252FA FF01558F
	v_mul_f32_dpp v42, v143, v42 row_newbcast:6 row_mask:0xf bank_mask:0xf// 0000000060BC: 0A5454FA FF01568F
	v_mul_f32_dpp v43, v143, v43 row_newbcast:7 row_mask:0xf bank_mask:0xf// 0000000060C4: 0A5656FA FF01578F
	v_mul_f32_dpp v44, v143, v44 row_newbcast:8 row_mask:0xf bank_mask:0xf// 0000000060CC: 0A5858FA FF01588F
	v_mul_f32_dpp v45, v143, v45 row_newbcast:9 row_mask:0xf bank_mask:0xf// 0000000060D4: 0A5A5AFA FF01598F
	v_mul_f32_dpp v46, v143, v46 row_newbcast:10 row_mask:0xf bank_mask:0xf// 0000000060DC: 0A5C5CFA FF015A8F
	v_mul_f32_dpp v47, v143, v47 row_newbcast:11 row_mask:0xf bank_mask:0xf// 0000000060E4: 0A5E5EFA FF015B8F
	v_mul_f32_dpp v48, v143, v48 row_newbcast:12 row_mask:0xf bank_mask:0xf// 0000000060EC: 0A6060FA FF015C8F
	v_mul_f32_dpp v49, v143, v49 row_newbcast:13 row_mask:0xf bank_mask:0xf// 0000000060F4: 0A6262FA FF015D8F
	v_mul_f32_dpp v50, v143, v50 row_newbcast:14 row_mask:0xf bank_mask:0xf// 0000000060FC: 0A6464FA FF015E8F
	v_mul_f32_dpp v51, v143, v51 row_newbcast:15 row_mask:0xf bank_mask:0xf// 000000006104: 0A6666FA FF015F8F
	v_mul_f32_dpp v52, v143, v52 row_newbcast:0 row_mask:0xf bank_mask:0xf// 00000000610C: 0A6868FA FF01508F
	v_mul_f32_dpp v53, v143, v53 row_newbcast:1 row_mask:0xf bank_mask:0xf// 000000006114: 0A6A6AFA FF01518F
	v_mul_f32_dpp v54, v143, v54 row_newbcast:2 row_mask:0xf bank_mask:0xf// 00000000611C: 0A6C6CFA FF01528F
	v_mul_f32_dpp v55, v143, v55 row_newbcast:3 row_mask:0xf bank_mask:0xf// 000000006124: 0A6E6EFA FF01538F
	v_mul_f32_dpp v56, v143, v56 row_newbcast:4 row_mask:0xf bank_mask:0xf// 00000000612C: 0A7070FA FF01548F
	v_mul_f32_dpp v57, v143, v57 row_newbcast:5 row_mask:0xf bank_mask:0xf// 000000006134: 0A7272FA FF01558F
	v_mul_f32_dpp v58, v143, v58 row_newbcast:6 row_mask:0xf bank_mask:0xf// 00000000613C: 0A7474FA FF01568F
	v_mul_f32_dpp v59, v143, v59 row_newbcast:7 row_mask:0xf bank_mask:0xf// 000000006144: 0A7676FA FF01578F
	v_mul_f32_dpp v60, v143, v60 row_newbcast:8 row_mask:0xf bank_mask:0xf// 00000000614C: 0A7878FA FF01588F
	v_mul_f32_dpp v61, v143, v61 row_newbcast:9 row_mask:0xf bank_mask:0xf// 000000006154: 0A7A7AFA FF01598F
	v_mul_f32_dpp v62, v143, v62 row_newbcast:10 row_mask:0xf bank_mask:0xf// 00000000615C: 0A7C7CFA FF015A8F
	v_mul_f32_dpp v63, v143, v63 row_newbcast:11 row_mask:0xf bank_mask:0xf// 000000006164: 0A7E7EFA FF015B8F
	v_mul_f32_dpp v64, v143, v64 row_newbcast:12 row_mask:0xf bank_mask:0xf// 00000000616C: 0A8080FA FF015C8F
	v_mul_f32_dpp v65, v143, v65 row_newbcast:13 row_mask:0xf bank_mask:0xf// 000000006174: 0A8282FA FF015D8F
	v_mul_f32_dpp v66, v143, v66 row_newbcast:14 row_mask:0xf bank_mask:0xf// 00000000617C: 0A8484FA FF015E8F
	v_mul_f32_dpp v67, v143, v67 row_newbcast:15 row_mask:0xf bank_mask:0xf// 000000006184: 0A8686FA FF015F8F
	v_mov_b32_e32 v176, 0x358637bd                             // 00000000618C: 7F6002FF 358637BD
	v_max3_f32 v176, |v4|, |v5|, v176                          // 000000006194: D1D303B0 06C20B04
	v_max3_f32 v176, |v6|, |v7|, v176                          // 00000000619C: D1D303B0 06C20F06
	v_max3_f32 v176, |v8|, |v9|, v176                          // 0000000061A4: D1D303B0 06C21308
	v_max3_f32 v176, |v10|, |v11|, v176                        // 0000000061AC: D1D303B0 06C2170A
	v_max3_f32 v176, |v12|, |v13|, v176                        // 0000000061B4: D1D303B0 06C21B0C
	v_max3_f32 v176, |v14|, |v15|, v176                        // 0000000061BC: D1D303B0 06C21F0E
	v_max3_f32 v176, |v16|, |v17|, v176                        // 0000000061C4: D1D303B0 06C22310
	v_max3_f32 v176, |v18|, |v19|, v176                        // 0000000061CC: D1D303B0 06C22712
	v_mov_b32_e32 v177, 0x358637bd                             // 0000000061D4: 7F6202FF 358637BD
	v_max3_f32 v177, |v20|, |v21|, v177                        // 0000000061DC: D1D303B1 06C62B14
	v_max3_f32 v177, |v22|, |v23|, v177                        // 0000000061E4: D1D303B1 06C62F16
	v_max3_f32 v177, |v24|, |v25|, v177                        // 0000000061EC: D1D303B1 06C63318
	v_max3_f32 v177, |v26|, |v27|, v177                        // 0000000061F4: D1D303B1 06C6371A
	v_max3_f32 v177, |v28|, |v29|, v177                        // 0000000061FC: D1D303B1 06C63B1C
	v_max3_f32 v177, |v30|, |v31|, v177                        // 000000006204: D1D303B1 06C63F1E
	v_max3_f32 v177, |v32|, |v33|, v177                        // 00000000620C: D1D303B1 06C64320
	v_max3_f32 v177, |v34|, |v35|, v177                        // 000000006214: D1D303B1 06C64722
	v_mov_b32_e32 v178, 0x358637bd                             // 00000000621C: 7F6402FF 358637BD
	v_max3_f32 v178, |v36|, |v37|, v178                        // 000000006224: D1D303B2 06CA4B24
	v_max3_f32 v178, |v38|, |v39|, v178                        // 00000000622C: D1D303B2 06CA4F26
	v_max3_f32 v178, |v40|, |v41|, v178                        // 000000006234: D1D303B2 06CA5328
	v_max3_f32 v178, |v42|, |v43|, v178                        // 00000000623C: D1D303B2 06CA572A
	v_max3_f32 v178, |v44|, |v45|, v178                        // 000000006244: D1D303B2 06CA5B2C
	v_max3_f32 v178, |v46|, |v47|, v178                        // 00000000624C: D1D303B2 06CA5F2E
	v_max3_f32 v178, |v48|, |v49|, v178                        // 000000006254: D1D303B2 06CA6330
	v_max3_f32 v178, |v50|, |v51|, v178                        // 00000000625C: D1D303B2 06CA6732
	v_mov_b32_e32 v179, 0x358637bd                             // 000000006264: 7F6602FF 358637BD
	v_max3_f32 v179, |v52|, |v53|, v179                        // 00000000626C: D1D303B3 06CE6B34
	v_max3_f32 v179, |v54|, |v55|, v179                        // 000000006274: D1D303B3 06CE6F36
	v_max3_f32 v179, |v56|, |v57|, v179                        // 00000000627C: D1D303B3 06CE7338
	v_max3_f32 v179, |v58|, |v59|, v179                        // 000000006284: D1D303B3 06CE773A
	v_max3_f32 v179, |v60|, |v61|, v179                        // 00000000628C: D1D303B3 06CE7B3C
	v_max3_f32 v179, |v62|, |v63|, v179                        // 000000006294: D1D303B3 06CE7F3E
	v_max3_f32 v179, |v64|, |v65|, v179                        // 00000000629C: D1D303B3 06CE8340
	v_max3_f32 v179, |v66|, |v67|, v179                        // 0000000062A4: D1D303B3 06CE8742
	ds_bpermute_b32 v180, v200, v176                           // 0000000062AC: D87E0000 B400B0C8
	ds_bpermute_b32 v181, v201, v176                           // 0000000062B4: D87E0000 B500B0C9
	ds_bpermute_b32 v182, v202, v176                           // 0000000062BC: D87E0000 B600B0CA
	ds_bpermute_b32 v183, v200, v177                           // 0000000062C4: D87E0000 B700B1C8
	ds_bpermute_b32 v184, v201, v177                           // 0000000062CC: D87E0000 B800B1C9
	ds_bpermute_b32 v185, v202, v177                           // 0000000062D4: D87E0000 B900B1CA
	ds_bpermute_b32 v186, v200, v178                           // 0000000062DC: D87E0000 BA00B2C8
	ds_bpermute_b32 v187, v201, v178                           // 0000000062E4: D87E0000 BB00B2C9
	ds_bpermute_b32 v188, v202, v178                           // 0000000062EC: D87E0000 BC00B2CA
	ds_bpermute_b32 v189, v200, v179                           // 0000000062F4: D87E0000 BD00B3C8
	ds_bpermute_b32 v190, v201, v179                           // 0000000062FC: D87E0000 BE00B3C9
	ds_bpermute_b32 v191, v202, v179                           // 000000006304: D87E0000 BF00B3CA
	s_waitcnt lgkmcnt(9)                                       // 00000000630C: BF8CC97F
	v_max3_f32 v176, v180, v181, v176                          // 000000006310: D1D300B0 06C36BB4
	v_max_f32_e32 v176, v182, v176                             // 000000006318: 176161B6
	s_waitcnt lgkmcnt(6)                                       // 00000000631C: BF8CC67F
	v_max3_f32 v177, v183, v184, v177                          // 000000006320: D1D300B1 06C771B7
	v_max_f32_e32 v177, v185, v177                             // 000000006328: 176363B9
	s_waitcnt lgkmcnt(3)                                       // 00000000632C: BF8CC37F
	v_max3_f32 v178, v186, v187, v178                          // 000000006330: D1D300B2 06CB77BA
	v_max_f32_e32 v178, v188, v178                             // 000000006338: 176565BC
	s_waitcnt lgkmcnt(0)                                       // 00000000633C: BF8CC07F
	v_max3_f32 v179, v189, v190, v179                          // 000000006340: D1D300B3 06CF7DBD
	v_max_f32_e32 v179, v191, v179                             // 000000006348: 176767BF
	ds_write_b128 v247, v[176:179] offset:4096                 // 00000000634C: D9BE1000 0000B0F7
	buffer_load_dword v140, v231, s[20:23], 0 offen            // 000000006354: E0501000 80058CE7
	s_waitcnt lgkmcnt(0)                                       // 00000000635C: BF8CC07F
	s_barrier                                                  // 000000006360: BF8A0000
	buffer_load_dword v142, v232, s[24:27], 0 offen            // 000000006364: E0501000 80068EE8
	ds_read_b128 v[180:183], v248 offset:4096                  // 00000000636C: D9FE1000 B40000F8
	ds_read_b128 v[184:187], v248 offset:4352                  // 000000006374: D9FE1100 B80000F8
	ds_read_b128 v[188:191], v248 offset:4608                  // 00000000637C: D9FE1200 BC0000F8
	ds_read_b128 v[192:195], v248 offset:4864                  // 000000006384: D9FE1300 C00000F8
	s_waitcnt lgkmcnt(0)                                       // 00000000638C: BF8CC07F
	v_max3_f32 v176, v180, v184, v176                          // 000000006390: D1D300B0 06C371B4
	v_max3_f32 v177, v181, v185, v177                          // 000000006398: D1D300B1 06C773B5
	v_max3_f32 v178, v182, v186, v178                          // 0000000063A0: D1D300B2 06CB75B6
	v_max3_f32 v179, v183, v187, v179                          // 0000000063A8: D1D300B3 06CF77B7
	v_max3_f32 v176, v188, v192, v176                          // 0000000063B0: D1D300B0 06C381BC
	v_max3_f32 v177, v189, v193, v177                          // 0000000063B8: D1D300B1 06C783BD
	v_max3_f32 v178, v190, v194, v178                          // 0000000063C0: D1D300B2 06CB85BE
	v_max3_f32 v179, v191, v195, v179                          // 0000000063C8: D1D300B3 06CF87BF
	v_rcp_f32_e32 v176, v176                                   // 0000000063D0: 7F6045B0
	v_rcp_f32_e32 v177, v177                                   // 0000000063D4: 7F6245B1
	v_rcp_f32_e32 v178, v178                                   // 0000000063D8: 7F6445B2
	v_rcp_f32_e32 v179, v179                                   // 0000000063DC: 7F6645B3
	v_mul_f32_e32 v176, 0x43700000, v176                       // 0000000063E0: 0B6160FF 43700000
	v_mul_f32_e32 v177, 0x43700000, v177                       // 0000000063E8: 0B6362FF 43700000
	v_mul_f32_e32 v178, 0x43700000, v178                       // 0000000063F0: 0B6564FF 43700000
	v_mul_f32_e32 v179, 0x43700000, v179                       // 0000000063F8: 0B6766FF 43700000
	v_mul_f32_e32 v4, v176, v4                                 // 000000006400: 0A0809B0
	v_mul_f32_e32 v5, v176, v5                                 // 000000006404: 0A0A0BB0
	v_mul_f32_e32 v6, v176, v6                                 // 000000006408: 0A0C0DB0
	v_mul_f32_e32 v7, v176, v7                                 // 00000000640C: 0A0E0FB0
	v_mul_f32_e32 v8, v176, v8                                 // 000000006410: 0A1011B0
	v_mul_f32_e32 v9, v176, v9                                 // 000000006414: 0A1213B0
	v_mul_f32_e32 v10, v176, v10                               // 000000006418: 0A1415B0
	v_mul_f32_e32 v11, v176, v11                               // 00000000641C: 0A1617B0
	v_mul_f32_e32 v12, v176, v12                               // 000000006420: 0A1819B0
	v_mul_f32_e32 v13, v176, v13                               // 000000006424: 0A1A1BB0
	v_mul_f32_e32 v14, v176, v14                               // 000000006428: 0A1C1DB0
	v_mul_f32_e32 v15, v176, v15                               // 00000000642C: 0A1E1FB0
	v_mul_f32_e32 v16, v176, v16                               // 000000006430: 0A2021B0
	v_mul_f32_e32 v17, v176, v17                               // 000000006434: 0A2223B0
	v_mul_f32_e32 v18, v176, v18                               // 000000006438: 0A2425B0
	v_mul_f32_e32 v19, v176, v19                               // 00000000643C: 0A2627B0
	v_mul_f32_e32 v20, v177, v20                               // 000000006440: 0A2829B1
	v_mul_f32_e32 v21, v177, v21                               // 000000006444: 0A2A2BB1
	v_mul_f32_e32 v22, v177, v22                               // 000000006448: 0A2C2DB1
	v_mul_f32_e32 v23, v177, v23                               // 00000000644C: 0A2E2FB1
	v_mul_f32_e32 v24, v177, v24                               // 000000006450: 0A3031B1
	v_mul_f32_e32 v25, v177, v25                               // 000000006454: 0A3233B1
	v_mul_f32_e32 v26, v177, v26                               // 000000006458: 0A3435B1
	v_mul_f32_e32 v27, v177, v27                               // 00000000645C: 0A3637B1
	v_mul_f32_e32 v28, v177, v28                               // 000000006460: 0A3839B1
	v_mul_f32_e32 v29, v177, v29                               // 000000006464: 0A3A3BB1
	v_mul_f32_e32 v30, v177, v30                               // 000000006468: 0A3C3DB1
	v_mul_f32_e32 v31, v177, v31                               // 00000000646C: 0A3E3FB1
	v_mul_f32_e32 v32, v177, v32                               // 000000006470: 0A4041B1
	v_mul_f32_e32 v33, v177, v33                               // 000000006474: 0A4243B1
	v_mul_f32_e32 v34, v177, v34                               // 000000006478: 0A4445B1
	v_mul_f32_e32 v35, v177, v35                               // 00000000647C: 0A4647B1
	v_mul_f32_e32 v36, v178, v36                               // 000000006480: 0A4849B2
	v_mul_f32_e32 v37, v178, v37                               // 000000006484: 0A4A4BB2
	v_mul_f32_e32 v38, v178, v38                               // 000000006488: 0A4C4DB2
	v_mul_f32_e32 v39, v178, v39                               // 00000000648C: 0A4E4FB2
	v_mul_f32_e32 v40, v178, v40                               // 000000006490: 0A5051B2
	v_mul_f32_e32 v41, v178, v41                               // 000000006494: 0A5253B2
	v_mul_f32_e32 v42, v178, v42                               // 000000006498: 0A5455B2
	v_mul_f32_e32 v43, v178, v43                               // 00000000649C: 0A5657B2
	v_mul_f32_e32 v44, v178, v44                               // 0000000064A0: 0A5859B2
	v_mul_f32_e32 v45, v178, v45                               // 0000000064A4: 0A5A5BB2
	v_mul_f32_e32 v46, v178, v46                               // 0000000064A8: 0A5C5DB2
	v_mul_f32_e32 v47, v178, v47                               // 0000000064AC: 0A5E5FB2
	v_mul_f32_e32 v48, v178, v48                               // 0000000064B0: 0A6061B2
	v_mul_f32_e32 v49, v178, v49                               // 0000000064B4: 0A6263B2
	v_mul_f32_e32 v50, v178, v50                               // 0000000064B8: 0A6465B2
	v_mul_f32_e32 v51, v178, v51                               // 0000000064BC: 0A6667B2
	v_mul_f32_e32 v52, v179, v52                               // 0000000064C0: 0A6869B3
	v_mul_f32_e32 v53, v179, v53                               // 0000000064C4: 0A6A6BB3
	v_mul_f32_e32 v54, v179, v54                               // 0000000064C8: 0A6C6DB3
	v_mul_f32_e32 v55, v179, v55                               // 0000000064CC: 0A6E6FB3
	v_mul_f32_e32 v56, v179, v56                               // 0000000064D0: 0A7071B3
	v_mul_f32_e32 v57, v179, v57                               // 0000000064D4: 0A7273B3
	v_mul_f32_e32 v58, v179, v58                               // 0000000064D8: 0A7475B3
	v_mul_f32_e32 v59, v179, v59                               // 0000000064DC: 0A7677B3
	v_mul_f32_e32 v60, v179, v60                               // 0000000064E0: 0A7879B3
	v_mul_f32_e32 v61, v179, v61                               // 0000000064E4: 0A7A7BB3
	v_mul_f32_e32 v62, v179, v62                               // 0000000064E8: 0A7C7DB3
	v_mul_f32_e32 v63, v179, v63                               // 0000000064EC: 0A7E7FB3
	v_mul_f32_e32 v64, v179, v64                               // 0000000064F0: 0A8081B3
	v_mul_f32_e32 v65, v179, v65                               // 0000000064F4: 0A8283B3
	v_mul_f32_e32 v66, v179, v66                               // 0000000064F8: 0A8485B3
	v_mul_f32_e32 v67, v179, v67                               // 0000000064FC: 0A8687B3
	v_cvt_pk_fp8_f32 v4, v4, v5                                // 000000006500: D2A20004 00020B04
	v_cvt_pk_fp8_f32 v4, v6, v7 op_sel:[0,0,1]                 // 000000006508: D2A24004 00020F06
	v_cvt_pk_fp8_f32 v5, v8, v9                                // 000000006510: D2A20005 00021308
	v_cvt_pk_fp8_f32 v5, v10, v11 op_sel:[0,0,1]               // 000000006518: D2A24005 0002170A
	v_cvt_pk_fp8_f32 v6, v12, v13                              // 000000006520: D2A20006 00021B0C
	v_cvt_pk_fp8_f32 v6, v14, v15 op_sel:[0,0,1]               // 000000006528: D2A24006 00021F0E
	v_cvt_pk_fp8_f32 v7, v16, v17                              // 000000006530: D2A20007 00022310
	v_cvt_pk_fp8_f32 v7, v18, v19 op_sel:[0,0,1]               // 000000006538: D2A24007 00022712
	v_cvt_pk_fp8_f32 v8, v20, v21                              // 000000006540: D2A20008 00022B14
	v_cvt_pk_fp8_f32 v8, v22, v23 op_sel:[0,0,1]               // 000000006548: D2A24008 00022F16
	v_cvt_pk_fp8_f32 v9, v24, v25                              // 000000006550: D2A20009 00023318
	v_cvt_pk_fp8_f32 v9, v26, v27 op_sel:[0,0,1]               // 000000006558: D2A24009 0002371A
	v_cvt_pk_fp8_f32 v10, v28, v29                             // 000000006560: D2A2000A 00023B1C
	v_cvt_pk_fp8_f32 v10, v30, v31 op_sel:[0,0,1]              // 000000006568: D2A2400A 00023F1E
	v_cvt_pk_fp8_f32 v11, v32, v33                             // 000000006570: D2A2000B 00024320
	v_cvt_pk_fp8_f32 v11, v34, v35 op_sel:[0,0,1]              // 000000006578: D2A2400B 00024722
	v_cvt_pk_fp8_f32 v12, v36, v37                             // 000000006580: D2A2000C 00024B24
	v_cvt_pk_fp8_f32 v12, v38, v39 op_sel:[0,0,1]              // 000000006588: D2A2400C 00024F26
	v_cvt_pk_fp8_f32 v13, v40, v41                             // 000000006590: D2A2000D 00025328
	v_cvt_pk_fp8_f32 v13, v42, v43 op_sel:[0,0,1]              // 000000006598: D2A2400D 0002572A
	v_cvt_pk_fp8_f32 v14, v44, v45                             // 0000000065A0: D2A2000E 00025B2C
	v_cvt_pk_fp8_f32 v14, v46, v47 op_sel:[0,0,1]              // 0000000065A8: D2A2400E 00025F2E
	v_cvt_pk_fp8_f32 v15, v48, v49                             // 0000000065B0: D2A2000F 00026330
	v_cvt_pk_fp8_f32 v15, v50, v51 op_sel:[0,0,1]              // 0000000065B8: D2A2400F 00026732
	v_cvt_pk_fp8_f32 v16, v52, v53                             // 0000000065C0: D2A20010 00026B34
	v_cvt_pk_fp8_f32 v16, v54, v55 op_sel:[0,0,1]              // 0000000065C8: D2A24010 00026F36
	v_cvt_pk_fp8_f32 v17, v56, v57                             // 0000000065D0: D2A20011 00027338
	v_cvt_pk_fp8_f32 v17, v58, v59 op_sel:[0,0,1]              // 0000000065D8: D2A24011 0002773A
	v_cvt_pk_fp8_f32 v18, v60, v61                             // 0000000065E0: D2A20012 00027B3C
	v_cvt_pk_fp8_f32 v18, v62, v63 op_sel:[0,0,1]              // 0000000065E8: D2A24012 00027F3E
	v_cvt_pk_fp8_f32 v19, v64, v65                             // 0000000065F0: D2A20013 00028340
	v_cvt_pk_fp8_f32 v19, v66, v67 op_sel:[0,0,1]              // 0000000065F8: D2A24013 00028742
	ds_write_b32 v249, v4 offset:8192                          // 000000006600: D81A2000 000004F9
	ds_write_b32 v249, v5 offset:9216                          // 000000006608: D81A2400 000005F9
	ds_write_b32 v249, v6 offset:10240                         // 000000006610: D81A2800 000006F9
	ds_write_b32 v249, v7 offset:11264                         // 000000006618: D81A2C00 000007F9
	ds_write_b32 v249, v8 offset:12288                         // 000000006620: D81A3000 000008F9
	ds_write_b32 v249, v9 offset:13312                         // 000000006628: D81A3400 000009F9
	ds_write_b32 v249, v10 offset:14336                        // 000000006630: D81A3800 00000AF9
	ds_write_b32 v249, v11 offset:15360                        // 000000006638: D81A3C00 00000BF9
	ds_write_b32 v249, v12 offset:16384                        // 000000006640: D81A4000 00000CF9
	ds_write_b32 v249, v13 offset:17408                        // 000000006648: D81A4400 00000DF9
	ds_write_b32 v249, v14 offset:18432                        // 000000006650: D81A4800 00000EF9
	ds_write_b32 v249, v15 offset:19456                        // 000000006658: D81A4C00 00000FF9
	ds_write_b32 v249, v16 offset:20480                        // 000000006660: D81A5000 000010F9
	ds_write_b32 v249, v17 offset:21504                        // 000000006668: D81A5400 000011F9
	ds_write_b32 v249, v18 offset:22528                        // 000000006670: D81A5800 000012F9
	ds_write_b32 v249, v19 offset:23552                        // 000000006678: D81A5C00 000013F9
	v_rcp_f32_e32 v144, v176                                   // 000000006680: 7F2045B0
	v_rcp_f32_e32 v146, v177                                   // 000000006684: 7F2445B1
	v_rcp_f32_e32 v148, v178                                   // 000000006688: 7F2845B2
	v_rcp_f32_e32 v150, v179                                   // 00000000668C: 7F2C45B3
	v_mov_b32_e32 v145, v144                                   // 000000006690: 7F220390
	v_mov_b32_e32 v147, v146                                   // 000000006694: 7F260392
	v_mov_b32_e32 v149, v148                                   // 000000006698: 7F2A0394
	v_mov_b32_e32 v151, v150                                   // 00000000669C: 7F2E0396
	v_pk_add_f32 v[100:101], v[100:101], v[68:69]              // 0000000066A0: D3B24064 18028964
	v_pk_add_f32 v[102:103], v[102:103], v[70:71]              // 0000000066A8: D3B24066 18028D66
	v_pk_add_f32 v[104:105], v[104:105], v[72:73]              // 0000000066B0: D3B24068 18029168
	v_pk_add_f32 v[106:107], v[106:107], v[74:75]              // 0000000066B8: D3B2406A 1802956A
	v_pk_add_f32 v[108:109], v[108:109], v[76:77]              // 0000000066C0: D3B2406C 1802996C
	v_pk_add_f32 v[110:111], v[110:111], v[78:79]              // 0000000066C8: D3B2406E 18029D6E
	v_pk_add_f32 v[112:113], v[112:113], v[80:81]              // 0000000066D0: D3B24070 1802A170
	v_pk_add_f32 v[114:115], v[114:115], v[82:83]              // 0000000066D8: D3B24072 1802A572
	v_pk_add_f32 v[116:117], v[116:117], v[84:85]              // 0000000066E0: D3B24074 1802A974
	v_pk_add_f32 v[118:119], v[118:119], v[86:87]              // 0000000066E8: D3B24076 1802AD76
	v_pk_add_f32 v[120:121], v[120:121], v[88:89]              // 0000000066F0: D3B24078 1802B178
	v_pk_add_f32 v[122:123], v[122:123], v[90:91]              // 0000000066F8: D3B2407A 1802B57A
	v_pk_add_f32 v[124:125], v[124:125], v[92:93]              // 000000006700: D3B2407C 1802B97C
	v_pk_add_f32 v[126:127], v[126:127], v[94:95]              // 000000006708: D3B2407E 1802BD7E
	v_pk_add_f32 v[128:129], v[128:129], v[96:97]              // 000000006710: D3B24080 1802C180
	v_pk_add_f32 v[130:131], v[130:131], v[98:99]              // 000000006718: D3B24082 1802C582
	s_waitcnt lgkmcnt(0)                                       // 000000006720: BF8CC07F
	s_barrier                                                  // 000000006724: BF8A0000
	ds_read_b128 v[4:7], v250 offset:8192                      // 000000006728: D9FE2000 040000FA
	ds_read_b128 v[8:11], v250 offset:9216                     // 000000006730: D9FE2400 080000FA
	ds_read_b128 v[12:15], v250 offset:10240                   // 000000006738: D9FE2800 0C0000FA
	ds_read_b128 v[16:19], v250 offset:11264                   // 000000006740: D9FE2C00 100000FA
	ds_read_b128 v[20:23], v250 offset:12288                   // 000000006748: D9FE3000 140000FA
	ds_read_b128 v[24:27], v250 offset:13312                   // 000000006750: D9FE3400 180000FA
	ds_read_b128 v[28:31], v250 offset:14336                   // 000000006758: D9FE3800 1C0000FA
	ds_read_b128 v[32:35], v250 offset:15360                   // 000000006760: D9FE3C00 200000FA
	ds_read_b128 v[36:39], v250 offset:16384                   // 000000006768: D9FE4000 240000FA
	ds_read_b128 v[40:43], v250 offset:17408                   // 000000006770: D9FE4400 280000FA
	ds_read_b128 v[44:47], v250 offset:18432                   // 000000006778: D9FE4800 2C0000FA
	ds_read_b128 v[48:51], v250 offset:19456                   // 000000006780: D9FE4C00 300000FA
	ds_read_b128 v[52:55], v250 offset:20480                   // 000000006788: D9FE5000 340000FA
	ds_read_b128 v[56:59], v250 offset:21504                   // 000000006790: D9FE5400 380000FA
	ds_read_b128 v[60:63], v250 offset:22528                   // 000000006798: D9FE5800 3C0000FA
	ds_read_b128 v[64:67], v250 offset:23552                   // 0000000067A0: D9FE5C00 400000FA
	s_waitcnt vmcnt(10)                                        // 0000000067A8: BF8C0F7A
	s_waitcnt vmcnt(63) expcnt(7) lgkmcnt(15)                  // 0000000067AC: BF8CCF7F
	v_mfma_f32_16x16x32_fp8_fp8 v[68:71], a[128:129], v[4:5], 0// 0000000067B0: D3F30044 0A020980
	v_mfma_f32_16x16x32_fp8_fp8 v[72:75], a[144:145], v[4:5], 0// 0000000067B8: D3F30048 0A020990
	v_mfma_f32_16x16x32_fp8_fp8 v[68:71], a[130:131], v[6:7], v[68:71]// 0000000067C0: D3F30044 0D120D82
	buffer_load_dwordx4 a[96:99], v227, s[16:19], 0 offen      // 0000000067C8: E05C1000 808460E3
	v_mfma_f32_16x16x32_fp8_fp8 v[72:75], a[146:147], v[6:7], v[72:75]// 0000000067D0: D3F30048 0D220D92
	s_waitcnt lgkmcnt(14)                                      // 0000000067D8: BF8CCE7F
	v_mfma_f32_16x16x32_fp8_fp8 v[68:71], a[132:133], v[8:9], v[68:71]// 0000000067DC: D3F30044 0D121184
	v_mfma_f32_16x16x32_fp8_fp8 v[72:75], a[148:149], v[8:9], v[72:75]// 0000000067E4: D3F30048 0D221194
	v_mfma_f32_16x16x32_fp8_fp8 v[68:71], a[134:135], v[10:11], v[68:71]// 0000000067EC: D3F30044 0D121586
	buffer_load_dwordx4 a[100:103], v228, s[16:19], 0 offen    // 0000000067F4: E05C1000 808464E4
	v_mfma_f32_16x16x32_fp8_fp8 v[72:75], a[150:151], v[10:11], v[72:75]// 0000000067FC: D3F30048 0D221596
	s_waitcnt lgkmcnt(13)                                      // 000000006804: BF8CCD7F
	v_mfma_f32_16x16x32_fp8_fp8 v[68:71], a[136:137], v[12:13], v[68:71]// 000000006808: D3F30044 0D121988
	v_mfma_f32_16x16x32_fp8_fp8 v[72:75], a[152:153], v[12:13], v[72:75]// 000000006810: D3F30048 0D221998
	v_mfma_f32_16x16x32_fp8_fp8 v[68:71], a[138:139], v[14:15], v[68:71]// 000000006818: D3F30044 0D121D8A
	buffer_load_dwordx4 a[104:107], v229, s[16:19], 0 offen    // 000000006820: E05C1000 808468E5
	v_mfma_f32_16x16x32_fp8_fp8 v[72:75], a[154:155], v[14:15], v[72:75]// 000000006828: D3F30048 0D221D9A
	s_waitcnt lgkmcnt(12)                                      // 000000006830: BF8CCC7F
	v_mfma_f32_16x16x32_fp8_fp8 v[68:71], a[140:141], v[16:17], v[68:71]// 000000006834: D3F30044 0D12218C
	v_mfma_f32_16x16x32_fp8_fp8 v[72:75], a[156:157], v[16:17], v[72:75]// 00000000683C: D3F30048 0D22219C
	v_mfma_f32_16x16x32_fp8_fp8 v[68:71], a[142:143], v[18:19], v[68:71]// 000000006844: D3F30044 0D12258E
	buffer_load_dwordx4 a[108:111], v230, s[16:19], 0 offen    // 00000000684C: E05C1000 80846CE6
	v_mfma_f32_16x16x32_fp8_fp8 v[72:75], a[158:159], v[18:19], v[72:75]// 000000006854: D3F30048 0D22259E
	s_waitcnt lgkmcnt(11)                                      // 00000000685C: BF8CCB7F
	v_mfma_f32_16x16x32_fp8_fp8 v[76:79], a[128:129], v[20:21], 0// 000000006860: D3F3004C 0A022980
	v_mfma_f32_16x16x32_fp8_fp8 v[80:83], a[144:145], v[20:21], 0// 000000006868: D3F30050 0A022990
	v_mfma_f32_16x16x32_fp8_fp8 v[76:79], a[130:131], v[22:23], v[76:79]// 000000006870: D3F3004C 0D322D82
	buffer_load_dwordx4 a[112:115], v227, s[16:19], 0 offen offset:1024// 000000006878: E05C1400 808470E3
	v_mfma_f32_16x16x32_fp8_fp8 v[80:83], a[146:147], v[22:23], v[80:83]// 000000006880: D3F30050 0D422D92
	s_waitcnt lgkmcnt(10)                                      // 000000006888: BF8CCA7F
	v_mfma_f32_16x16x32_fp8_fp8 v[76:79], a[132:133], v[24:25], v[76:79]// 00000000688C: D3F3004C 0D323184
	v_mfma_f32_16x16x32_fp8_fp8 v[80:83], a[148:149], v[24:25], v[80:83]// 000000006894: D3F30050 0D423194
	v_mfma_f32_16x16x32_fp8_fp8 v[76:79], a[134:135], v[26:27], v[76:79]// 00000000689C: D3F3004C 0D323586
	buffer_load_dwordx4 a[116:119], v228, s[16:19], 0 offen offset:1024// 0000000068A4: E05C1400 808474E4
	v_mfma_f32_16x16x32_fp8_fp8 v[80:83], a[150:151], v[26:27], v[80:83]// 0000000068AC: D3F30050 0D423596
	s_waitcnt lgkmcnt(9)                                       // 0000000068B4: BF8CC97F
	v_mfma_f32_16x16x32_fp8_fp8 v[76:79], a[136:137], v[28:29], v[76:79]// 0000000068B8: D3F3004C 0D323988
	v_mfma_f32_16x16x32_fp8_fp8 v[80:83], a[152:153], v[28:29], v[80:83]// 0000000068C0: D3F30050 0D423998
	v_mfma_f32_16x16x32_fp8_fp8 v[76:79], a[138:139], v[30:31], v[76:79]// 0000000068C8: D3F3004C 0D323D8A
	buffer_load_dwordx4 a[120:123], v229, s[16:19], 0 offen offset:1024// 0000000068D0: E05C1400 808478E5
	v_mfma_f32_16x16x32_fp8_fp8 v[80:83], a[154:155], v[30:31], v[80:83]// 0000000068D8: D3F30050 0D423D9A
	s_waitcnt lgkmcnt(8)                                       // 0000000068E0: BF8CC87F
	v_mfma_f32_16x16x32_fp8_fp8 v[76:79], a[140:141], v[32:33], v[76:79]// 0000000068E4: D3F3004C 0D32418C
	v_mfma_f32_16x16x32_fp8_fp8 v[80:83], a[156:157], v[32:33], v[80:83]// 0000000068EC: D3F30050 0D42419C
	v_mfma_f32_16x16x32_fp8_fp8 v[76:79], a[142:143], v[34:35], v[76:79]// 0000000068F4: D3F3004C 0D32458E
	buffer_load_dwordx4 a[124:127], v230, s[16:19], 0 offen offset:1024// 0000000068FC: E05C1400 80847CE6
	v_mfma_f32_16x16x32_fp8_fp8 v[80:83], a[158:159], v[34:35], v[80:83]// 000000006904: D3F30050 0D42459E
	s_waitcnt lgkmcnt(7)                                       // 00000000690C: BF8CC77F
	v_mfma_f32_16x16x32_fp8_fp8 v[84:87], a[128:129], v[36:37], 0// 000000006910: D3F30054 0A024980
	v_mfma_f32_16x16x32_fp8_fp8 v[88:91], a[144:145], v[36:37], 0// 000000006918: D3F30058 0A024990
	v_mfma_f32_16x16x32_fp8_fp8 v[84:87], a[130:131], v[38:39], v[84:87]// 000000006920: D3F30054 0D524D82
	v_mfma_f32_16x16x32_fp8_fp8 v[88:91], a[146:147], v[38:39], v[88:91]// 000000006928: D3F30058 0D624D92
	s_waitcnt lgkmcnt(6)                                       // 000000006930: BF8CC67F
	v_mfma_f32_16x16x32_fp8_fp8 v[84:87], a[132:133], v[40:41], v[84:87]// 000000006934: D3F30054 0D525184
	v_mfma_f32_16x16x32_fp8_fp8 v[88:91], a[148:149], v[40:41], v[88:91]// 00000000693C: D3F30058 0D625194
	v_mfma_f32_16x16x32_fp8_fp8 v[84:87], a[134:135], v[42:43], v[84:87]// 000000006944: D3F30054 0D525586
	v_mfma_f32_16x16x32_fp8_fp8 v[88:91], a[150:151], v[42:43], v[88:91]// 00000000694C: D3F30058 0D625596
	s_waitcnt lgkmcnt(5)                                       // 000000006954: BF8CC57F
	v_mfma_f32_16x16x32_fp8_fp8 v[84:87], a[136:137], v[44:45], v[84:87]// 000000006958: D3F30054 0D525988
	v_mfma_f32_16x16x32_fp8_fp8 v[88:91], a[152:153], v[44:45], v[88:91]// 000000006960: D3F30058 0D625998
	v_mfma_f32_16x16x32_fp8_fp8 v[84:87], a[138:139], v[46:47], v[84:87]// 000000006968: D3F30054 0D525D8A
	v_mfma_f32_16x16x32_fp8_fp8 v[88:91], a[154:155], v[46:47], v[88:91]// 000000006970: D3F30058 0D625D9A
	s_waitcnt lgkmcnt(4)                                       // 000000006978: BF8CC47F
	v_mfma_f32_16x16x32_fp8_fp8 v[84:87], a[140:141], v[48:49], v[84:87]// 00000000697C: D3F30054 0D52618C
	v_mfma_f32_16x16x32_fp8_fp8 v[88:91], a[156:157], v[48:49], v[88:91]// 000000006984: D3F30058 0D62619C
	v_mfma_f32_16x16x32_fp8_fp8 v[84:87], a[142:143], v[50:51], v[84:87]// 00000000698C: D3F30054 0D52658E
	v_mfma_f32_16x16x32_fp8_fp8 v[88:91], a[158:159], v[50:51], v[88:91]// 000000006994: D3F30058 0D62659E
	s_waitcnt lgkmcnt(3)                                       // 00000000699C: BF8CC37F
	v_mfma_f32_16x16x32_fp8_fp8 v[92:95], a[128:129], v[52:53], 0// 0000000069A0: D3F3005C 0A026980
	v_mfma_f32_16x16x32_fp8_fp8 v[96:99], a[144:145], v[52:53], 0// 0000000069A8: D3F30060 0A026990
	v_mfma_f32_16x16x32_fp8_fp8 v[92:95], a[130:131], v[54:55], v[92:95]// 0000000069B0: D3F3005C 0D726D82
	v_mfma_f32_16x16x32_fp8_fp8 v[96:99], a[146:147], v[54:55], v[96:99]// 0000000069B8: D3F30060 0D826D92
	s_waitcnt lgkmcnt(2)                                       // 0000000069C0: BF8CC27F
	v_mfma_f32_16x16x32_fp8_fp8 v[92:95], a[132:133], v[56:57], v[92:95]// 0000000069C4: D3F3005C 0D727184
	v_mfma_f32_16x16x32_fp8_fp8 v[96:99], a[148:149], v[56:57], v[96:99]// 0000000069CC: D3F30060 0D827194
	v_mfma_f32_16x16x32_fp8_fp8 v[92:95], a[134:135], v[58:59], v[92:95]// 0000000069D4: D3F3005C 0D727586
	v_mfma_f32_16x16x32_fp8_fp8 v[96:99], a[150:151], v[58:59], v[96:99]// 0000000069DC: D3F30060 0D827596
	s_waitcnt lgkmcnt(1)                                       // 0000000069E4: BF8CC17F
	v_mfma_f32_16x16x32_fp8_fp8 v[92:95], a[136:137], v[60:61], v[92:95]// 0000000069E8: D3F3005C 0D727988
	v_mfma_f32_16x16x32_fp8_fp8 v[96:99], a[152:153], v[60:61], v[96:99]// 0000000069F0: D3F30060 0D827998
	v_mfma_f32_16x16x32_fp8_fp8 v[92:95], a[138:139], v[62:63], v[92:95]// 0000000069F8: D3F3005C 0D727D8A
	v_mfma_f32_16x16x32_fp8_fp8 v[96:99], a[154:155], v[62:63], v[96:99]// 000000006A00: D3F30060 0D827D9A
	s_waitcnt lgkmcnt(0)                                       // 000000006A08: BF8CC07F
	v_mfma_f32_16x16x32_fp8_fp8 v[92:95], a[140:141], v[64:65], v[92:95]// 000000006A0C: D3F3005C 0D72818C
	v_mfma_f32_16x16x32_fp8_fp8 v[96:99], a[156:157], v[64:65], v[96:99]// 000000006A14: D3F30060 0D82819C
	v_mfma_f32_16x16x32_fp8_fp8 v[92:95], a[142:143], v[66:67], v[92:95]// 000000006A1C: D3F3005C 0D72858E
	v_mfma_f32_16x16x32_fp8_fp8 v[96:99], a[158:159], v[66:67], v[96:99]// 000000006A24: D3F30060 0D82859E
	s_addk_i32 s64, 0x100                                      // 000000006A2C: B7400100
	s_cmp_lt_i32 s64, s63                                      // 000000006A30: BF043F40
	s_cbranch_scc0 label_4690                                  // 000000006A34: BF843602
	s_waitcnt vmcnt(10)                                        // 000000006A38: BF8C0F7A
	v_mfma_f32_16x16x32_fp8_fp8 v[4:7], a[32:33], a[0:1], 0    // 000000006A3C: D3F30004 1A020120
	s_add_u32 s12, s86, s69                                    // 000000006A44: 800C4556
	s_addc_u32 s13, s87, 0                                     // 000000006A48: 820D8057
	v_mfma_f32_16x16x32_fp8_fp8 v[4:7], a[34:35], a[2:3], v[4:7]// 000000006A4C: D3F30004 1C120522
	s_add_u32 s16, s88, s70                                    // 000000006A54: 80104658
	s_addc_u32 s17, s89, 0                                     // 000000006A58: 82118059
	v_mfma_f32_16x16x32_fp8_fp8 v[4:7], a[36:37], a[4:5], v[4:7]// 000000006A5C: D3F30004 1C120924
	buffer_load_dwordx4 a[64:67], v225, s[12:15], 0 offen      // 000000006A64: E05C1000 808340E1
	v_mfma_f32_16x16x32_fp8_fp8 v[4:7], a[38:39], a[6:7], v[4:7]// 000000006A6C: D3F30004 1C120D26
	s_add_u32 s20, s90, s71                                    // 000000006A74: 8014475A
	s_addc_u32 s21, s91, 0                                     // 000000006A78: 8215805B
	v_mfma_f32_16x16x32_fp8_fp8 v[8:11], a[40:41], a[0:1], 0   // 000000006A7C: D3F30008 1A020128
	s_add_u32 s24, s92, s71                                    // 000000006A84: 8018475C
	s_addc_u32 s25, s93, 0                                     // 000000006A88: 8219805D
	v_mfma_f32_16x16x32_fp8_fp8 v[8:11], a[42:43], a[2:3], v[8:11]// 000000006A8C: D3F30008 1C22052A
	s_mul_i32 s69, s59, s50                                    // 000000006A94: 9245323B
	s_mul_i32 s71, s59, s66                                    // 000000006A98: 9247423B
	v_mfma_f32_16x16x32_fp8_fp8 v[8:11], a[44:45], a[4:5], v[8:11]// 000000006A9C: D3F30008 1C22092C
	buffer_load_dwordx4 a[68:71], v226, s[12:15], 0 offen      // 000000006AA4: E05C1000 808344E2
	v_mfma_f32_16x16x32_fp8_fp8 v[8:11], a[46:47], a[6:7], v[8:11]// 000000006AAC: D3F30008 1C220D2E
	s_mul_i32 s54, s78, s51                                    // 000000006AB4: 9236334E
	s_add_u32 s69, s69, s54                                    // 000000006AB8: 80453645
	v_mfma_f32_16x16x32_fp8_fp8 v[12:15], a[48:49], a[0:1], 0  // 000000006ABC: D3F3000C 1A020130
	s_mov_b32 s70, s69                                         // 000000006AC4: BEC60045
	v_mfma_f32_16x16x32_fp8_fp8 v[12:15], a[50:51], a[2:3], v[12:15]// 000000006AC8: D3F3000C 1C320532
	s_mul_i32 s54, s78, s100                                   // 000000006AD0: 9236644E
	s_add_u32 s71, s71, s54                                    // 000000006AD4: 80473647
	v_mfma_f32_16x16x32_fp8_fp8 v[12:15], a[52:53], a[4:5], v[12:15]// 000000006AD8: D3F3000C 1C320934
	buffer_load_dwordx4 a[72:75], v225, s[12:15], 0 offen offset:1024// 000000006AE0: E05C1400 808348E1
	v_mfma_f32_16x16x32_fp8_fp8 v[12:15], a[54:55], a[6:7], v[12:15]// 000000006AE8: D3F3000C 1C320D36
	v_mfma_f32_16x16x32_fp8_fp8 v[16:19], a[56:57], a[0:1], 0  // 000000006AF0: D3F30010 1A020138
	v_mfma_f32_16x16x32_fp8_fp8 v[16:19], a[58:59], a[2:3], v[16:19]// 000000006AF8: D3F30010 1C42053A
	v_mfma_f32_16x16x32_fp8_fp8 v[16:19], a[60:61], a[4:5], v[16:19]// 000000006B00: D3F30010 1C42093C
	buffer_load_dwordx4 a[76:79], v226, s[12:15], 0 offen offset:1024// 000000006B08: E05C1400 80834CE2
	v_mfma_f32_16x16x32_fp8_fp8 v[16:19], a[62:63], a[6:7], v[16:19]// 000000006B10: D3F30010 1C420D3E
	v_mfma_f32_16x16x32_fp8_fp8 v[20:23], a[32:33], a[8:9], 0  // 000000006B18: D3F30014 1A021120
	v_mfma_f32_16x16x32_fp8_fp8 v[20:23], a[34:35], a[10:11], v[20:23]// 000000006B20: D3F30014 1C521522
	v_mfma_f32_16x16x32_fp8_fp8 v[20:23], a[36:37], a[12:13], v[20:23]// 000000006B28: D3F30014 1C521924
	buffer_load_dwordx4 a[80:83], v225, s[12:15], 0 offen offset:2048// 000000006B30: E05C1800 808350E1
	v_mfma_f32_16x16x32_fp8_fp8 v[20:23], a[38:39], a[14:15], v[20:23]// 000000006B38: D3F30014 1C521D26
	v_mfma_f32_16x16x32_fp8_fp8 v[24:27], a[40:41], a[8:9], 0  // 000000006B40: D3F30018 1A021128
	v_mfma_f32_16x16x32_fp8_fp8 v[24:27], a[42:43], a[10:11], v[24:27]// 000000006B48: D3F30018 1C62152A
	v_mfma_f32_16x16x32_fp8_fp8 v[24:27], a[44:45], a[12:13], v[24:27]// 000000006B50: D3F30018 1C62192C
	buffer_load_dwordx4 a[84:87], v226, s[12:15], 0 offen offset:2048// 000000006B58: E05C1800 808354E2
	v_mfma_f32_16x16x32_fp8_fp8 v[24:27], a[46:47], a[14:15], v[24:27]// 000000006B60: D3F30018 1C621D2E
	v_mfma_f32_16x16x32_fp8_fp8 v[28:31], a[48:49], a[8:9], 0  // 000000006B68: D3F3001C 1A021130
	v_mfma_f32_16x16x32_fp8_fp8 v[28:31], a[50:51], a[10:11], v[28:31]// 000000006B70: D3F3001C 1C721532
	v_mfma_f32_16x16x32_fp8_fp8 v[28:31], a[52:53], a[12:13], v[28:31]// 000000006B78: D3F3001C 1C721934
	buffer_load_dwordx4 a[88:91], v225, s[12:15], 0 offen offset:3072// 000000006B80: E05C1C00 808358E1
	v_mfma_f32_16x16x32_fp8_fp8 v[28:31], a[54:55], a[14:15], v[28:31]// 000000006B88: D3F3001C 1C721D36
	v_mfma_f32_16x16x32_fp8_fp8 v[32:35], a[56:57], a[8:9], 0  // 000000006B90: D3F30020 1A021138
	v_mfma_f32_16x16x32_fp8_fp8 v[32:35], a[58:59], a[10:11], v[32:35]// 000000006B98: D3F30020 1C82153A
	v_mfma_f32_16x16x32_fp8_fp8 v[32:35], a[60:61], a[12:13], v[32:35]// 000000006BA0: D3F30020 1C82193C
	buffer_load_dwordx4 a[92:95], v226, s[12:15], 0 offen offset:3072// 000000006BA8: E05C1C00 80835CE2
	v_mfma_f32_16x16x32_fp8_fp8 v[32:35], a[62:63], a[14:15], v[32:35]// 000000006BB0: D3F30020 1C821D3E
	v_mfma_f32_16x16x32_fp8_fp8 v[36:39], a[32:33], a[16:17], 0// 000000006BB8: D3F30024 1A022120
	v_mfma_f32_16x16x32_fp8_fp8 v[36:39], a[34:35], a[18:19], v[36:39]// 000000006BC0: D3F30024 1C922522
	v_mfma_f32_16x16x32_fp8_fp8 v[36:39], a[36:37], a[20:21], v[36:39]// 000000006BC8: D3F30024 1C922924
	v_mfma_f32_16x16x32_fp8_fp8 v[36:39], a[38:39], a[22:23], v[36:39]// 000000006BD0: D3F30024 1C922D26
	v_mfma_f32_16x16x32_fp8_fp8 v[40:43], a[40:41], a[16:17], 0// 000000006BD8: D3F30028 1A022128
	v_mfma_f32_16x16x32_fp8_fp8 v[40:43], a[42:43], a[18:19], v[40:43]// 000000006BE0: D3F30028 1CA2252A
	v_mfma_f32_16x16x32_fp8_fp8 v[40:43], a[44:45], a[20:21], v[40:43]// 000000006BE8: D3F30028 1CA2292C
	v_mfma_f32_16x16x32_fp8_fp8 v[40:43], a[46:47], a[22:23], v[40:43]// 000000006BF0: D3F30028 1CA22D2E
	v_mfma_f32_16x16x32_fp8_fp8 v[44:47], a[48:49], a[16:17], 0// 000000006BF8: D3F3002C 1A022130
	v_mfma_f32_16x16x32_fp8_fp8 v[44:47], a[50:51], a[18:19], v[44:47]// 000000006C00: D3F3002C 1CB22532
	v_mfma_f32_16x16x32_fp8_fp8 v[44:47], a[52:53], a[20:21], v[44:47]// 000000006C08: D3F3002C 1CB22934
	v_mfma_f32_16x16x32_fp8_fp8 v[44:47], a[54:55], a[22:23], v[44:47]// 000000006C10: D3F3002C 1CB22D36
	v_mfma_f32_16x16x32_fp8_fp8 v[48:51], a[56:57], a[16:17], 0// 000000006C18: D3F30030 1A022138
	v_mfma_f32_16x16x32_fp8_fp8 v[48:51], a[58:59], a[18:19], v[48:51]// 000000006C20: D3F30030 1CC2253A
	v_mfma_f32_16x16x32_fp8_fp8 v[48:51], a[60:61], a[20:21], v[48:51]// 000000006C28: D3F30030 1CC2293C
	v_mfma_f32_16x16x32_fp8_fp8 v[48:51], a[62:63], a[22:23], v[48:51]// 000000006C30: D3F30030 1CC22D3E
	v_mfma_f32_16x16x32_fp8_fp8 v[52:55], a[32:33], a[24:25], 0// 000000006C38: D3F30034 1A023120
	v_mfma_f32_16x16x32_fp8_fp8 v[52:55], a[34:35], a[26:27], v[52:55]// 000000006C40: D3F30034 1CD23522
	v_mfma_f32_16x16x32_fp8_fp8 v[52:55], a[36:37], a[28:29], v[52:55]// 000000006C48: D3F30034 1CD23924
	v_mfma_f32_16x16x32_fp8_fp8 v[52:55], a[38:39], a[30:31], v[52:55]// 000000006C50: D3F30034 1CD23D26
	v_mfma_f32_16x16x32_fp8_fp8 v[56:59], a[40:41], a[24:25], 0// 000000006C58: D3F30038 1A023128
	v_mfma_f32_16x16x32_fp8_fp8 v[56:59], a[42:43], a[26:27], v[56:59]// 000000006C60: D3F30038 1CE2352A
	v_mfma_f32_16x16x32_fp8_fp8 v[56:59], a[44:45], a[28:29], v[56:59]// 000000006C68: D3F30038 1CE2392C
	v_mfma_f32_16x16x32_fp8_fp8 v[56:59], a[46:47], a[30:31], v[56:59]// 000000006C70: D3F30038 1CE23D2E
	v_mfma_f32_16x16x32_fp8_fp8 v[60:63], a[48:49], a[24:25], 0// 000000006C78: D3F3003C 1A023130
	v_mfma_f32_16x16x32_fp8_fp8 v[60:63], a[50:51], a[26:27], v[60:63]// 000000006C80: D3F3003C 1CF23532
	v_mfma_f32_16x16x32_fp8_fp8 v[60:63], a[52:53], a[28:29], v[60:63]// 000000006C88: D3F3003C 1CF23934
	v_mfma_f32_16x16x32_fp8_fp8 v[60:63], a[54:55], a[30:31], v[60:63]// 000000006C90: D3F3003C 1CF23D36
	v_mfma_f32_16x16x32_fp8_fp8 v[64:67], a[56:57], a[24:25], 0// 000000006C98: D3F30040 1A023138
	v_mfma_f32_16x16x32_fp8_fp8 v[64:67], a[58:59], a[26:27], v[64:67]// 000000006CA0: D3F30040 1D02353A
	v_mfma_f32_16x16x32_fp8_fp8 v[64:67], a[60:61], a[28:29], v[64:67]// 000000006CA8: D3F30040 1D02393C
	v_mfma_f32_16x16x32_fp8_fp8 v[64:67], a[62:63], a[30:31], v[64:67]// 000000006CB0: D3F30040 1D023D3E
	s_waitcnt vmcnt(16)                                        // 000000006CB8: BF8C4F70
	v_pk_mul_f32 v[4:5], v[132:133], v[4:5]                    // 000000006CBC: D3B14004 18020984
	v_pk_mul_f32 v[6:7], v[132:133], v[6:7]                    // 000000006CC4: D3B14006 18020D84
	v_mul_f32_dpp v4, v140, v4 row_newbcast:0 row_mask:0xf bank_mask:0xf// 000000006CCC: 0A0808FA FF01508C
	v_mul_f32_dpp v5, v140, v5 row_newbcast:1 row_mask:0xf bank_mask:0xf// 000000006CD4: 0A0A0AFA FF01518C
	v_mul_f32_dpp v6, v140, v6 row_newbcast:2 row_mask:0xf bank_mask:0xf// 000000006CDC: 0A0C0CFA FF01528C
	v_mul_f32_dpp v7, v140, v7 row_newbcast:3 row_mask:0xf bank_mask:0xf// 000000006CE4: 0A0E0EFA FF01538C
	v_pk_mul_f32 v[8:9], v[132:133], v[8:9]                    // 000000006CEC: D3B14008 18021184
	v_pk_mul_f32 v[10:11], v[132:133], v[10:11]                // 000000006CF4: D3B1400A 18021584
	v_mul_f32_dpp v8, v140, v8 row_newbcast:4 row_mask:0xf bank_mask:0xf// 000000006CFC: 0A1010FA FF01548C
	v_mul_f32_dpp v9, v140, v9 row_newbcast:5 row_mask:0xf bank_mask:0xf// 000000006D04: 0A1212FA FF01558C
	v_mul_f32_dpp v10, v140, v10 row_newbcast:6 row_mask:0xf bank_mask:0xf// 000000006D0C: 0A1414FA FF01568C
	v_mul_f32_dpp v11, v140, v11 row_newbcast:7 row_mask:0xf bank_mask:0xf// 000000006D14: 0A1616FA FF01578C
	v_pk_mul_f32 v[12:13], v[132:133], v[12:13]                // 000000006D1C: D3B1400C 18021984
	v_pk_mul_f32 v[14:15], v[132:133], v[14:15]                // 000000006D24: D3B1400E 18021D84
	v_mul_f32_dpp v12, v140, v12 row_newbcast:8 row_mask:0xf bank_mask:0xf// 000000006D2C: 0A1818FA FF01588C
	v_mul_f32_dpp v13, v140, v13 row_newbcast:9 row_mask:0xf bank_mask:0xf// 000000006D34: 0A1A1AFA FF01598C
	v_mul_f32_dpp v14, v140, v14 row_newbcast:10 row_mask:0xf bank_mask:0xf// 000000006D3C: 0A1C1CFA FF015A8C
	v_mul_f32_dpp v15, v140, v15 row_newbcast:11 row_mask:0xf bank_mask:0xf// 000000006D44: 0A1E1EFA FF015B8C
	v_pk_mul_f32 v[16:17], v[132:133], v[16:17]                // 000000006D4C: D3B14010 18022184
	v_pk_mul_f32 v[18:19], v[132:133], v[18:19]                // 000000006D54: D3B14012 18022584
	v_mul_f32_dpp v16, v140, v16 row_newbcast:12 row_mask:0xf bank_mask:0xf// 000000006D5C: 0A2020FA FF015C8C
	v_mul_f32_dpp v17, v140, v17 row_newbcast:13 row_mask:0xf bank_mask:0xf// 000000006D64: 0A2222FA FF015D8C
	v_mul_f32_dpp v18, v140, v18 row_newbcast:14 row_mask:0xf bank_mask:0xf// 000000006D6C: 0A2424FA FF015E8C
	v_mul_f32_dpp v19, v140, v19 row_newbcast:15 row_mask:0xf bank_mask:0xf// 000000006D74: 0A2626FA FF015F8C
	v_pk_mul_f32 v[20:21], v[134:135], v[20:21]                // 000000006D7C: D3B14014 18022986
	v_pk_mul_f32 v[22:23], v[134:135], v[22:23]                // 000000006D84: D3B14016 18022D86
	v_mul_f32_dpp v20, v140, v20 row_newbcast:0 row_mask:0xf bank_mask:0xf// 000000006D8C: 0A2828FA FF01508C
	v_mul_f32_dpp v21, v140, v21 row_newbcast:1 row_mask:0xf bank_mask:0xf// 000000006D94: 0A2A2AFA FF01518C
	v_mul_f32_dpp v22, v140, v22 row_newbcast:2 row_mask:0xf bank_mask:0xf// 000000006D9C: 0A2C2CFA FF01528C
	v_mul_f32_dpp v23, v140, v23 row_newbcast:3 row_mask:0xf bank_mask:0xf// 000000006DA4: 0A2E2EFA FF01538C
	v_pk_mul_f32 v[24:25], v[134:135], v[24:25]                // 000000006DAC: D3B14018 18023186
	v_pk_mul_f32 v[26:27], v[134:135], v[26:27]                // 000000006DB4: D3B1401A 18023586
	v_mul_f32_dpp v24, v140, v24 row_newbcast:4 row_mask:0xf bank_mask:0xf// 000000006DBC: 0A3030FA FF01548C
	v_mul_f32_dpp v25, v140, v25 row_newbcast:5 row_mask:0xf bank_mask:0xf// 000000006DC4: 0A3232FA FF01558C
	v_mul_f32_dpp v26, v140, v26 row_newbcast:6 row_mask:0xf bank_mask:0xf// 000000006DCC: 0A3434FA FF01568C
	v_mul_f32_dpp v27, v140, v27 row_newbcast:7 row_mask:0xf bank_mask:0xf// 000000006DD4: 0A3636FA FF01578C
	v_pk_mul_f32 v[28:29], v[134:135], v[28:29]                // 000000006DDC: D3B1401C 18023986
	v_pk_mul_f32 v[30:31], v[134:135], v[30:31]                // 000000006DE4: D3B1401E 18023D86
	v_mul_f32_dpp v28, v140, v28 row_newbcast:8 row_mask:0xf bank_mask:0xf// 000000006DEC: 0A3838FA FF01588C
	v_mul_f32_dpp v29, v140, v29 row_newbcast:9 row_mask:0xf bank_mask:0xf// 000000006DF4: 0A3A3AFA FF01598C
	v_mul_f32_dpp v30, v140, v30 row_newbcast:10 row_mask:0xf bank_mask:0xf// 000000006DFC: 0A3C3CFA FF015A8C
	v_mul_f32_dpp v31, v140, v31 row_newbcast:11 row_mask:0xf bank_mask:0xf// 000000006E04: 0A3E3EFA FF015B8C
	v_pk_mul_f32 v[32:33], v[134:135], v[32:33]                // 000000006E0C: D3B14020 18024186
	v_pk_mul_f32 v[34:35], v[134:135], v[34:35]                // 000000006E14: D3B14022 18024586
	v_mul_f32_dpp v32, v140, v32 row_newbcast:12 row_mask:0xf bank_mask:0xf// 000000006E1C: 0A4040FA FF015C8C
	v_mul_f32_dpp v33, v140, v33 row_newbcast:13 row_mask:0xf bank_mask:0xf// 000000006E24: 0A4242FA FF015D8C
	v_mul_f32_dpp v34, v140, v34 row_newbcast:14 row_mask:0xf bank_mask:0xf// 000000006E2C: 0A4444FA FF015E8C
	v_mul_f32_dpp v35, v140, v35 row_newbcast:15 row_mask:0xf bank_mask:0xf// 000000006E34: 0A4646FA FF015F8C
	v_pk_mul_f32 v[36:37], v[136:137], v[36:37]                // 000000006E3C: D3B14024 18024988
	v_pk_mul_f32 v[38:39], v[136:137], v[38:39]                // 000000006E44: D3B14026 18024D88
	v_mul_f32_dpp v36, v140, v36 row_newbcast:0 row_mask:0xf bank_mask:0xf// 000000006E4C: 0A4848FA FF01508C
	v_mul_f32_dpp v37, v140, v37 row_newbcast:1 row_mask:0xf bank_mask:0xf// 000000006E54: 0A4A4AFA FF01518C
	v_mul_f32_dpp v38, v140, v38 row_newbcast:2 row_mask:0xf bank_mask:0xf// 000000006E5C: 0A4C4CFA FF01528C
	v_mul_f32_dpp v39, v140, v39 row_newbcast:3 row_mask:0xf bank_mask:0xf// 000000006E64: 0A4E4EFA FF01538C
	v_pk_mul_f32 v[40:41], v[136:137], v[40:41]                // 000000006E6C: D3B14028 18025188
	v_pk_mul_f32 v[42:43], v[136:137], v[42:43]                // 000000006E74: D3B1402A 18025588
	v_mul_f32_dpp v40, v140, v40 row_newbcast:4 row_mask:0xf bank_mask:0xf// 000000006E7C: 0A5050FA FF01548C
	v_mul_f32_dpp v41, v140, v41 row_newbcast:5 row_mask:0xf bank_mask:0xf// 000000006E84: 0A5252FA FF01558C
	v_mul_f32_dpp v42, v140, v42 row_newbcast:6 row_mask:0xf bank_mask:0xf// 000000006E8C: 0A5454FA FF01568C
	v_mul_f32_dpp v43, v140, v43 row_newbcast:7 row_mask:0xf bank_mask:0xf// 000000006E94: 0A5656FA FF01578C
	v_pk_mul_f32 v[44:45], v[136:137], v[44:45]                // 000000006E9C: D3B1402C 18025988
	v_pk_mul_f32 v[46:47], v[136:137], v[46:47]                // 000000006EA4: D3B1402E 18025D88
	v_mul_f32_dpp v44, v140, v44 row_newbcast:8 row_mask:0xf bank_mask:0xf// 000000006EAC: 0A5858FA FF01588C
	v_mul_f32_dpp v45, v140, v45 row_newbcast:9 row_mask:0xf bank_mask:0xf// 000000006EB4: 0A5A5AFA FF01598C
	v_mul_f32_dpp v46, v140, v46 row_newbcast:10 row_mask:0xf bank_mask:0xf// 000000006EBC: 0A5C5CFA FF015A8C
	v_mul_f32_dpp v47, v140, v47 row_newbcast:11 row_mask:0xf bank_mask:0xf// 000000006EC4: 0A5E5EFA FF015B8C
	v_pk_mul_f32 v[48:49], v[136:137], v[48:49]                // 000000006ECC: D3B14030 18026188
	v_pk_mul_f32 v[50:51], v[136:137], v[50:51]                // 000000006ED4: D3B14032 18026588
	v_mul_f32_dpp v48, v140, v48 row_newbcast:12 row_mask:0xf bank_mask:0xf// 000000006EDC: 0A6060FA FF015C8C
	v_mul_f32_dpp v49, v140, v49 row_newbcast:13 row_mask:0xf bank_mask:0xf// 000000006EE4: 0A6262FA FF015D8C
	v_mul_f32_dpp v50, v140, v50 row_newbcast:14 row_mask:0xf bank_mask:0xf// 000000006EEC: 0A6464FA FF015E8C
	v_mul_f32_dpp v51, v140, v51 row_newbcast:15 row_mask:0xf bank_mask:0xf// 000000006EF4: 0A6666FA FF015F8C
	v_pk_mul_f32 v[52:53], v[138:139], v[52:53]                // 000000006EFC: D3B14034 1802698A
	v_pk_mul_f32 v[54:55], v[138:139], v[54:55]                // 000000006F04: D3B14036 18026D8A
	v_mul_f32_dpp v52, v140, v52 row_newbcast:0 row_mask:0xf bank_mask:0xf// 000000006F0C: 0A6868FA FF01508C
	v_mul_f32_dpp v53, v140, v53 row_newbcast:1 row_mask:0xf bank_mask:0xf// 000000006F14: 0A6A6AFA FF01518C
	v_mul_f32_dpp v54, v140, v54 row_newbcast:2 row_mask:0xf bank_mask:0xf// 000000006F1C: 0A6C6CFA FF01528C
	v_mul_f32_dpp v55, v140, v55 row_newbcast:3 row_mask:0xf bank_mask:0xf// 000000006F24: 0A6E6EFA FF01538C
	v_pk_mul_f32 v[56:57], v[138:139], v[56:57]                // 000000006F2C: D3B14038 1802718A
	v_pk_mul_f32 v[58:59], v[138:139], v[58:59]                // 000000006F34: D3B1403A 1802758A
	v_mul_f32_dpp v56, v140, v56 row_newbcast:4 row_mask:0xf bank_mask:0xf// 000000006F3C: 0A7070FA FF01548C
	v_mul_f32_dpp v57, v140, v57 row_newbcast:5 row_mask:0xf bank_mask:0xf// 000000006F44: 0A7272FA FF01558C
	v_mul_f32_dpp v58, v140, v58 row_newbcast:6 row_mask:0xf bank_mask:0xf// 000000006F4C: 0A7474FA FF01568C
	v_mul_f32_dpp v59, v140, v59 row_newbcast:7 row_mask:0xf bank_mask:0xf// 000000006F54: 0A7676FA FF01578C
	v_pk_mul_f32 v[60:61], v[138:139], v[60:61]                // 000000006F5C: D3B1403C 1802798A
	v_pk_mul_f32 v[62:63], v[138:139], v[62:63]                // 000000006F64: D3B1403E 18027D8A
	v_mul_f32_dpp v60, v140, v60 row_newbcast:8 row_mask:0xf bank_mask:0xf// 000000006F6C: 0A7878FA FF01588C
	v_mul_f32_dpp v61, v140, v61 row_newbcast:9 row_mask:0xf bank_mask:0xf// 000000006F74: 0A7A7AFA FF01598C
	v_mul_f32_dpp v62, v140, v62 row_newbcast:10 row_mask:0xf bank_mask:0xf// 000000006F7C: 0A7C7CFA FF015A8C
	v_mul_f32_dpp v63, v140, v63 row_newbcast:11 row_mask:0xf bank_mask:0xf// 000000006F84: 0A7E7EFA FF015B8C
	v_pk_mul_f32 v[64:65], v[138:139], v[64:65]                // 000000006F8C: D3B14040 1802818A
	v_pk_mul_f32 v[66:67], v[138:139], v[66:67]                // 000000006F94: D3B14042 1802858A
	v_mul_f32_dpp v64, v140, v64 row_newbcast:12 row_mask:0xf bank_mask:0xf// 000000006F9C: 0A8080FA FF015C8C
	v_mul_f32_dpp v65, v140, v65 row_newbcast:13 row_mask:0xf bank_mask:0xf// 000000006FA4: 0A8282FA FF015D8C
	v_mul_f32_dpp v66, v140, v66 row_newbcast:14 row_mask:0xf bank_mask:0xf// 000000006FAC: 0A8484FA FF015E8C
	v_mul_f32_dpp v67, v140, v67 row_newbcast:15 row_mask:0xf bank_mask:0xf// 000000006FB4: 0A8686FA FF015F8C
	v_mov_b32_e32 v176, v4                                     // 000000006FBC: 7F600304
	v_max3_f32 v176, v4, v5, v176                              // 000000006FC0: D1D300B0 06C20B04
	v_max3_f32 v176, v6, v7, v176                              // 000000006FC8: D1D300B0 06C20F06
	v_max3_f32 v176, v8, v9, v176                              // 000000006FD0: D1D300B0 06C21308
	v_max3_f32 v176, v10, v11, v176                            // 000000006FD8: D1D300B0 06C2170A
	v_max3_f32 v176, v12, v13, v176                            // 000000006FE0: D1D300B0 06C21B0C
	v_max3_f32 v176, v14, v15, v176                            // 000000006FE8: D1D300B0 06C21F0E
	v_max3_f32 v176, v16, v17, v176                            // 000000006FF0: D1D300B0 06C22310
	v_max3_f32 v176, v18, v19, v176                            // 000000006FF8: D1D300B0 06C22712
	v_mov_b32_e32 v177, v20                                    // 000000007000: 7F620314
	v_max3_f32 v177, v20, v21, v177                            // 000000007004: D1D300B1 06C62B14
	v_max3_f32 v177, v22, v23, v177                            // 00000000700C: D1D300B1 06C62F16
	v_max3_f32 v177, v24, v25, v177                            // 000000007014: D1D300B1 06C63318
	v_max3_f32 v177, v26, v27, v177                            // 00000000701C: D1D300B1 06C6371A
	v_max3_f32 v177, v28, v29, v177                            // 000000007024: D1D300B1 06C63B1C
	v_max3_f32 v177, v30, v31, v177                            // 00000000702C: D1D300B1 06C63F1E
	v_max3_f32 v177, v32, v33, v177                            // 000000007034: D1D300B1 06C64320
	v_max3_f32 v177, v34, v35, v177                            // 00000000703C: D1D300B1 06C64722
	v_mov_b32_e32 v178, v36                                    // 000000007044: 7F640324
	v_max3_f32 v178, v36, v37, v178                            // 000000007048: D1D300B2 06CA4B24
	v_max3_f32 v178, v38, v39, v178                            // 000000007050: D1D300B2 06CA4F26
	v_max3_f32 v178, v40, v41, v178                            // 000000007058: D1D300B2 06CA5328
	v_max3_f32 v178, v42, v43, v178                            // 000000007060: D1D300B2 06CA572A
	v_max3_f32 v178, v44, v45, v178                            // 000000007068: D1D300B2 06CA5B2C
	v_max3_f32 v178, v46, v47, v178                            // 000000007070: D1D300B2 06CA5F2E
	v_max3_f32 v178, v48, v49, v178                            // 000000007078: D1D300B2 06CA6330
	v_max3_f32 v178, v50, v51, v178                            // 000000007080: D1D300B2 06CA6732
	v_mov_b32_e32 v179, v52                                    // 000000007088: 7F660334
	v_max3_f32 v179, v52, v53, v179                            // 00000000708C: D1D300B3 06CE6B34
	v_max3_f32 v179, v54, v55, v179                            // 000000007094: D1D300B3 06CE6F36
	v_max3_f32 v179, v56, v57, v179                            // 00000000709C: D1D300B3 06CE7338
	v_max3_f32 v179, v58, v59, v179                            // 0000000070A4: D1D300B3 06CE773A
	v_max3_f32 v179, v60, v61, v179                            // 0000000070AC: D1D300B3 06CE7B3C
	v_max3_f32 v179, v62, v63, v179                            // 0000000070B4: D1D300B3 06CE7F3E
	v_max3_f32 v179, v64, v65, v179                            // 0000000070BC: D1D300B3 06CE8340
	v_max3_f32 v179, v66, v67, v179                            // 0000000070C4: D1D300B3 06CE8742
	ds_bpermute_b32 v180, v200, v176                           // 0000000070CC: D87E0000 B400B0C8
	ds_bpermute_b32 v181, v201, v176                           // 0000000070D4: D87E0000 B500B0C9
	ds_bpermute_b32 v182, v202, v176                           // 0000000070DC: D87E0000 B600B0CA
	ds_bpermute_b32 v183, v200, v177                           // 0000000070E4: D87E0000 B700B1C8
	ds_bpermute_b32 v184, v201, v177                           // 0000000070EC: D87E0000 B800B1C9
	ds_bpermute_b32 v185, v202, v177                           // 0000000070F4: D87E0000 B900B1CA
	ds_bpermute_b32 v186, v200, v178                           // 0000000070FC: D87E0000 BA00B2C8
	ds_bpermute_b32 v187, v201, v178                           // 000000007104: D87E0000 BB00B2C9
	ds_bpermute_b32 v188, v202, v178                           // 00000000710C: D87E0000 BC00B2CA
	ds_bpermute_b32 v189, v200, v179                           // 000000007114: D87E0000 BD00B3C8
	ds_bpermute_b32 v190, v201, v179                           // 00000000711C: D87E0000 BE00B3C9
	ds_bpermute_b32 v191, v202, v179                           // 000000007124: D87E0000 BF00B3CA
	v_pk_mul_f32 v[100:101], v[160:161], v[100:101]            // 00000000712C: D3B14064 1802C9A0
	v_pk_mul_f32 v[102:103], v[160:161], v[102:103]            // 000000007134: D3B14066 1802CDA0
	v_pk_mul_f32 v[104:105], v[160:161], v[104:105]            // 00000000713C: D3B14068 1802D1A0
	v_pk_mul_f32 v[106:107], v[160:161], v[106:107]            // 000000007144: D3B1406A 1802D5A0
	v_pk_mul_f32 v[108:109], v[162:163], v[108:109]            // 00000000714C: D3B1406C 1802D9A2
	v_pk_mul_f32 v[110:111], v[162:163], v[110:111]            // 000000007154: D3B1406E 1802DDA2
	v_pk_mul_f32 v[112:113], v[162:163], v[112:113]            // 00000000715C: D3B14070 1802E1A2
	v_pk_mul_f32 v[114:115], v[162:163], v[114:115]            // 000000007164: D3B14072 1802E5A2
	v_pk_mul_f32 v[116:117], v[164:165], v[116:117]            // 00000000716C: D3B14074 1802E9A4
	v_pk_mul_f32 v[118:119], v[164:165], v[118:119]            // 000000007174: D3B14076 1802EDA4
	v_pk_mul_f32 v[120:121], v[164:165], v[120:121]            // 00000000717C: D3B14078 1802F1A4
	v_pk_mul_f32 v[122:123], v[164:165], v[122:123]            // 000000007184: D3B1407A 1802F5A4
	v_pk_mul_f32 v[124:125], v[166:167], v[124:125]            // 00000000718C: D3B1407C 1802F9A6
	v_pk_mul_f32 v[126:127], v[166:167], v[126:127]            // 000000007194: D3B1407E 1802FDA6
	v_pk_mul_f32 v[128:129], v[166:167], v[128:129]            // 00000000719C: D3B14080 180301A6
	v_pk_mul_f32 v[130:131], v[166:167], v[130:131]            // 0000000071A4: D3B14082 180305A6
	s_waitcnt lgkmcnt(9)                                       // 0000000071AC: BF8CC97F
	v_max3_f32 v176, v180, v181, v176                          // 0000000071B0: D1D300B0 06C36BB4
	v_max_f32_e32 v176, v182, v176                             // 0000000071B8: 176161B6
	s_waitcnt lgkmcnt(6)                                       // 0000000071BC: BF8CC67F
	v_max3_f32 v177, v183, v184, v177                          // 0000000071C0: D1D300B1 06C771B7
	v_max_f32_e32 v177, v185, v177                             // 0000000071C8: 176363B9
	s_waitcnt lgkmcnt(3)                                       // 0000000071CC: BF8CC37F
	v_max3_f32 v178, v186, v187, v178                          // 0000000071D0: D1D300B2 06CB77BA
	v_max_f32_e32 v178, v188, v178                             // 0000000071D8: 176565BC
	s_waitcnt lgkmcnt(0)                                       // 0000000071DC: BF8CC07F
	v_max3_f32 v179, v189, v190, v179                          // 0000000071E0: D1D300B3 06CF7DBD
	v_max_f32_e32 v179, v191, v179                             // 0000000071E8: 176767BF
	ds_write_b128 v247, v[176:179]                             // 0000000071EC: D9BE0000 0000B0F7
	s_waitcnt lgkmcnt(0)                                       // 0000000071F4: BF8CC07F
	s_barrier                                                  // 0000000071F8: BF8A0000
	ds_read_b128 v[180:183], v248                              // 0000000071FC: D9FE0000 B40000F8
	ds_read_b128 v[184:187], v248 offset:256                   // 000000007204: D9FE0100 B80000F8
	ds_read_b128 v[188:191], v248 offset:512                   // 00000000720C: D9FE0200 BC0000F8
	ds_read_b128 v[192:195], v248 offset:768                   // 000000007214: D9FE0300 C00000F8
	v_pk_mul_f32 v[68:69], v[144:145], v[68:69]                // 00000000721C: D3B14044 18028990
	v_pk_mul_f32 v[70:71], v[144:145], v[70:71]                // 000000007224: D3B14046 18028D90
	v_pk_mul_f32 v[72:73], v[144:145], v[72:73]                // 00000000722C: D3B14048 18029190
	v_pk_mul_f32 v[74:75], v[144:145], v[74:75]                // 000000007234: D3B1404A 18029590
	v_pk_mul_f32 v[76:77], v[146:147], v[76:77]                // 00000000723C: D3B1404C 18029992
	v_pk_mul_f32 v[78:79], v[146:147], v[78:79]                // 000000007244: D3B1404E 18029D92
	v_pk_mul_f32 v[80:81], v[146:147], v[80:81]                // 00000000724C: D3B14050 1802A192
	v_pk_mul_f32 v[82:83], v[146:147], v[82:83]                // 000000007254: D3B14052 1802A592
	v_pk_mul_f32 v[84:85], v[148:149], v[84:85]                // 00000000725C: D3B14054 1802A994
	v_pk_mul_f32 v[86:87], v[148:149], v[86:87]                // 000000007264: D3B14056 1802AD94
	v_pk_mul_f32 v[88:89], v[148:149], v[88:89]                // 00000000726C: D3B14058 1802B194
	v_pk_mul_f32 v[90:91], v[148:149], v[90:91]                // 000000007274: D3B1405A 1802B594
	v_pk_mul_f32 v[92:93], v[150:151], v[92:93]                // 00000000727C: D3B1405C 1802B996
	v_pk_mul_f32 v[94:95], v[150:151], v[94:95]                // 000000007284: D3B1405E 1802BD96
	v_pk_mul_f32 v[96:97], v[150:151], v[96:97]                // 00000000728C: D3B14060 1802C196
	v_pk_mul_f32 v[98:99], v[150:151], v[98:99]                // 000000007294: D3B14062 1802C596
	s_waitcnt lgkmcnt(0)                                       // 00000000729C: BF8CC07F
	v_max3_f32 v176, v180, v184, v176                          // 0000000072A0: D1D300B0 06C371B4
	v_max3_f32 v177, v181, v185, v177                          // 0000000072A8: D1D300B1 06C773B5
	v_max3_f32 v178, v182, v186, v178                          // 0000000072B0: D1D300B2 06CB75B6
	v_max3_f32 v179, v183, v187, v179                          // 0000000072B8: D1D300B3 06CF77B7
	v_max3_f32 v176, v188, v192, v176                          // 0000000072C0: D1D300B0 06C381BC
	v_max3_f32 v177, v189, v193, v177                          // 0000000072C8: D1D300B1 06C783BD
	v_max3_f32 v178, v190, v194, v178                          // 0000000072D0: D1D300B2 06CB85BE
	v_max3_f32 v179, v191, v195, v179                          // 0000000072D8: D1D300B3 06CF87BF
	v_max_f32_e32 v156, v176, v152                             // 0000000072E0: 173931B0
	v_mul_f32_e64 v196, -s46, v156                             // 0000000072E4: D10500C4 2003382E
	v_mov_b32_e32 v197, v196                                   // 0000000072EC: 7F8A03C4
	v_pk_fma_f32 v[4:5], v[4:5], s[46:47], v[196:197]          // 0000000072F0: D3B04004 1F105D04
	v_pk_fma_f32 v[6:7], v[6:7], s[46:47], v[196:197]          // 0000000072F8: D3B04006 1F105D06
	v_exp_f32_e32 v4, v4                                       // 000000007300: 7E084104
	v_exp_f32_e32 v5, v5                                       // 000000007304: 7E0A4105
	v_exp_f32_e32 v6, v6                                       // 000000007308: 7E0C4106
	v_exp_f32_e32 v7, v7                                       // 00000000730C: 7E0E4107
	v_pk_fma_f32 v[8:9], v[8:9], s[46:47], v[196:197]          // 000000007310: D3B04008 1F105D08
	v_pk_fma_f32 v[10:11], v[10:11], s[46:47], v[196:197]      // 000000007318: D3B0400A 1F105D0A
	v_exp_f32_e32 v8, v8                                       // 000000007320: 7E104108
	v_exp_f32_e32 v9, v9                                       // 000000007324: 7E124109
	v_exp_f32_e32 v10, v10                                     // 000000007328: 7E14410A
	v_exp_f32_e32 v11, v11                                     // 00000000732C: 7E16410B
	v_pk_fma_f32 v[12:13], v[12:13], s[46:47], v[196:197]      // 000000007330: D3B0400C 1F105D0C
	v_pk_fma_f32 v[14:15], v[14:15], s[46:47], v[196:197]      // 000000007338: D3B0400E 1F105D0E
	v_exp_f32_e32 v12, v12                                     // 000000007340: 7E18410C
	v_exp_f32_e32 v13, v13                                     // 000000007344: 7E1A410D
	v_exp_f32_e32 v14, v14                                     // 000000007348: 7E1C410E
	v_exp_f32_e32 v15, v15                                     // 00000000734C: 7E1E410F
	v_pk_fma_f32 v[16:17], v[16:17], s[46:47], v[196:197]      // 000000007350: D3B04010 1F105D10
	v_pk_fma_f32 v[18:19], v[18:19], s[46:47], v[196:197]      // 000000007358: D3B04012 1F105D12
	v_exp_f32_e32 v16, v16                                     // 000000007360: 7E204110
	v_exp_f32_e32 v17, v17                                     // 000000007364: 7E224111
	v_exp_f32_e32 v18, v18                                     // 000000007368: 7E244112
	v_exp_f32_e32 v19, v19                                     // 00000000736C: 7E264113
	v_max_f32_e32 v157, v177, v153                             // 000000007370: 173B33B1
	v_mul_f32_e64 v196, -s46, v157                             // 000000007374: D10500C4 20033A2E
	v_mov_b32_e32 v197, v196                                   // 00000000737C: 7F8A03C4
	v_pk_fma_f32 v[20:21], v[20:21], s[46:47], v[196:197]      // 000000007380: D3B04014 1F105D14
	v_pk_fma_f32 v[22:23], v[22:23], s[46:47], v[196:197]      // 000000007388: D3B04016 1F105D16
	v_exp_f32_e32 v20, v20                                     // 000000007390: 7E284114
	v_exp_f32_e32 v21, v21                                     // 000000007394: 7E2A4115
	v_exp_f32_e32 v22, v22                                     // 000000007398: 7E2C4116
	v_exp_f32_e32 v23, v23                                     // 00000000739C: 7E2E4117
	v_pk_fma_f32 v[24:25], v[24:25], s[46:47], v[196:197]      // 0000000073A0: D3B04018 1F105D18
	v_pk_fma_f32 v[26:27], v[26:27], s[46:47], v[196:197]      // 0000000073A8: D3B0401A 1F105D1A
	v_exp_f32_e32 v24, v24                                     // 0000000073B0: 7E304118
	v_exp_f32_e32 v25, v25                                     // 0000000073B4: 7E324119
	v_exp_f32_e32 v26, v26                                     // 0000000073B8: 7E34411A
	v_exp_f32_e32 v27, v27                                     // 0000000073BC: 7E36411B
	v_pk_fma_f32 v[28:29], v[28:29], s[46:47], v[196:197]      // 0000000073C0: D3B0401C 1F105D1C
	v_pk_fma_f32 v[30:31], v[30:31], s[46:47], v[196:197]      // 0000000073C8: D3B0401E 1F105D1E
	v_exp_f32_e32 v28, v28                                     // 0000000073D0: 7E38411C
	v_exp_f32_e32 v29, v29                                     // 0000000073D4: 7E3A411D
	v_exp_f32_e32 v30, v30                                     // 0000000073D8: 7E3C411E
	v_exp_f32_e32 v31, v31                                     // 0000000073DC: 7E3E411F
	v_pk_fma_f32 v[32:33], v[32:33], s[46:47], v[196:197]      // 0000000073E0: D3B04020 1F105D20
	v_pk_fma_f32 v[34:35], v[34:35], s[46:47], v[196:197]      // 0000000073E8: D3B04022 1F105D22
	v_exp_f32_e32 v32, v32                                     // 0000000073F0: 7E404120
	v_exp_f32_e32 v33, v33                                     // 0000000073F4: 7E424121
	v_exp_f32_e32 v34, v34                                     // 0000000073F8: 7E444122
	v_exp_f32_e32 v35, v35                                     // 0000000073FC: 7E464123
	v_max_f32_e32 v158, v178, v154                             // 000000007400: 173D35B2
	v_mul_f32_e64 v196, -s46, v158                             // 000000007404: D10500C4 20033C2E
	v_mov_b32_e32 v197, v196                                   // 00000000740C: 7F8A03C4
	v_pk_fma_f32 v[36:37], v[36:37], s[46:47], v[196:197]      // 000000007410: D3B04024 1F105D24
	v_pk_fma_f32 v[38:39], v[38:39], s[46:47], v[196:197]      // 000000007418: D3B04026 1F105D26
	v_exp_f32_e32 v36, v36                                     // 000000007420: 7E484124
	v_exp_f32_e32 v37, v37                                     // 000000007424: 7E4A4125
	v_exp_f32_e32 v38, v38                                     // 000000007428: 7E4C4126
	v_exp_f32_e32 v39, v39                                     // 00000000742C: 7E4E4127
	v_pk_fma_f32 v[40:41], v[40:41], s[46:47], v[196:197]      // 000000007430: D3B04028 1F105D28
	v_pk_fma_f32 v[42:43], v[42:43], s[46:47], v[196:197]      // 000000007438: D3B0402A 1F105D2A
	v_exp_f32_e32 v40, v40                                     // 000000007440: 7E504128
	v_exp_f32_e32 v41, v41                                     // 000000007444: 7E524129
	v_exp_f32_e32 v42, v42                                     // 000000007448: 7E54412A
	v_exp_f32_e32 v43, v43                                     // 00000000744C: 7E56412B
	v_pk_fma_f32 v[44:45], v[44:45], s[46:47], v[196:197]      // 000000007450: D3B0402C 1F105D2C
	v_pk_fma_f32 v[46:47], v[46:47], s[46:47], v[196:197]      // 000000007458: D3B0402E 1F105D2E
	v_exp_f32_e32 v44, v44                                     // 000000007460: 7E58412C
	v_exp_f32_e32 v45, v45                                     // 000000007464: 7E5A412D
	v_exp_f32_e32 v46, v46                                     // 000000007468: 7E5C412E
	v_exp_f32_e32 v47, v47                                     // 00000000746C: 7E5E412F
	v_pk_fma_f32 v[48:49], v[48:49], s[46:47], v[196:197]      // 000000007470: D3B04030 1F105D30
	v_pk_fma_f32 v[50:51], v[50:51], s[46:47], v[196:197]      // 000000007478: D3B04032 1F105D32
	v_exp_f32_e32 v48, v48                                     // 000000007480: 7E604130
	v_exp_f32_e32 v49, v49                                     // 000000007484: 7E624131
	v_exp_f32_e32 v50, v50                                     // 000000007488: 7E644132
	v_exp_f32_e32 v51, v51                                     // 00000000748C: 7E664133
	v_max_f32_e32 v159, v179, v155                             // 000000007490: 173F37B3
	v_mul_f32_e64 v196, -s46, v159                             // 000000007494: D10500C4 20033E2E
	v_mov_b32_e32 v197, v196                                   // 00000000749C: 7F8A03C4
	v_pk_fma_f32 v[52:53], v[52:53], s[46:47], v[196:197]      // 0000000074A0: D3B04034 1F105D34
	v_pk_fma_f32 v[54:55], v[54:55], s[46:47], v[196:197]      // 0000000074A8: D3B04036 1F105D36
	v_exp_f32_e32 v52, v52                                     // 0000000074B0: 7E684134
	v_exp_f32_e32 v53, v53                                     // 0000000074B4: 7E6A4135
	v_exp_f32_e32 v54, v54                                     // 0000000074B8: 7E6C4136
	v_exp_f32_e32 v55, v55                                     // 0000000074BC: 7E6E4137
	v_pk_fma_f32 v[56:57], v[56:57], s[46:47], v[196:197]      // 0000000074C0: D3B04038 1F105D38
	v_pk_fma_f32 v[58:59], v[58:59], s[46:47], v[196:197]      // 0000000074C8: D3B0403A 1F105D3A
	v_exp_f32_e32 v56, v56                                     // 0000000074D0: 7E704138
	v_exp_f32_e32 v57, v57                                     // 0000000074D4: 7E724139
	v_exp_f32_e32 v58, v58                                     // 0000000074D8: 7E74413A
	v_exp_f32_e32 v59, v59                                     // 0000000074DC: 7E76413B
	v_pk_fma_f32 v[60:61], v[60:61], s[46:47], v[196:197]      // 0000000074E0: D3B0403C 1F105D3C
	v_pk_fma_f32 v[62:63], v[62:63], s[46:47], v[196:197]      // 0000000074E8: D3B0403E 1F105D3E
	v_exp_f32_e32 v60, v60                                     // 0000000074F0: 7E78413C
	v_exp_f32_e32 v61, v61                                     // 0000000074F4: 7E7A413D
	v_exp_f32_e32 v62, v62                                     // 0000000074F8: 7E7C413E
	v_exp_f32_e32 v63, v63                                     // 0000000074FC: 7E7E413F
	v_pk_fma_f32 v[64:65], v[64:65], s[46:47], v[196:197]      // 000000007500: D3B04040 1F105D40
	v_pk_fma_f32 v[66:67], v[66:67], s[46:47], v[196:197]      // 000000007508: D3B04042 1F105D42
	v_exp_f32_e32 v64, v64                                     // 000000007510: 7E804140
	v_exp_f32_e32 v65, v65                                     // 000000007514: 7E824141
	v_exp_f32_e32 v66, v66                                     // 000000007518: 7E844142
	v_exp_f32_e32 v67, v67                                     // 00000000751C: 7E864143
	v_sub_f32_e32 v160, v152, v156                             // 000000007520: 05413998
	v_cmp_eq_u32_e64 s[98:99], v216, v152                      // 000000007524: D0CA0062 000331D8
	v_cndmask_b32_e64 v160, v160, 0, s[98:99]                  // 00000000752C: D10000A0 018901A0
	v_mov_b32_e32 v152, v156                                   // 000000007534: 7F30039C
	v_mul_f32_e32 v160, s46, v160                              // 000000007538: 0B41402E
	v_exp_f32_e32 v160, v160                                   // 00000000753C: 7F4041A0
	v_sub_f32_e32 v162, v153, v157                             // 000000007540: 05453B99
	v_cmp_eq_u32_e64 s[98:99], v216, v153                      // 000000007544: D0CA0062 000333D8
	v_cndmask_b32_e64 v162, v162, 0, s[98:99]                  // 00000000754C: D10000A2 018901A2
	v_mov_b32_e32 v153, v157                                   // 000000007554: 7F32039D
	v_mul_f32_e32 v162, s46, v162                              // 000000007558: 0B45442E
	v_exp_f32_e32 v162, v162                                   // 00000000755C: 7F4441A2
	v_sub_f32_e32 v164, v154, v158                             // 000000007560: 05493D9A
	v_cmp_eq_u32_e64 s[98:99], v216, v154                      // 000000007564: D0CA0062 000335D8
	v_cndmask_b32_e64 v164, v164, 0, s[98:99]                  // 00000000756C: D10000A4 018901A4
	v_mov_b32_e32 v154, v158                                   // 000000007574: 7F34039E
	v_mul_f32_e32 v164, s46, v164                              // 000000007578: 0B49482E
	v_exp_f32_e32 v164, v164                                   // 00000000757C: 7F4841A4
	v_sub_f32_e32 v166, v155, v159                             // 000000007580: 054D3F9B
	v_cmp_eq_u32_e64 s[98:99], v216, v155                      // 000000007584: D0CA0062 000337D8
	v_cndmask_b32_e64 v166, v166, 0, s[98:99]                  // 00000000758C: D10000A6 018901A6
	v_mov_b32_e32 v155, v159                                   // 000000007594: 7F36039F
	v_mul_f32_e32 v166, s46, v166                              // 000000007598: 0B4D4C2E
	v_exp_f32_e32 v166, v166                                   // 00000000759C: 7F4C41A6
	v_mov_b32_e32 v161, v160                                   // 0000000075A0: 7F4203A0
	v_mov_b32_e32 v163, v162                                   // 0000000075A4: 7F4603A2
	v_mov_b32_e32 v165, v164                                   // 0000000075A8: 7F4A03A4
	v_mov_b32_e32 v167, v166                                   // 0000000075AC: 7F4E03A6
	v_mul_f32_e32 v168, v160, v168                             // 0000000075B0: 0B5151A0
	v_mov_b32_e32 v169, 0                                      // 0000000075B4: 7F520280
	v_pk_add_f32 v[168:169], v[4:5], v[168:169]                // 0000000075B8: D3B240A8 18035104
	v_pk_add_f32 v[168:169], v[6:7], v[168:169]                // 0000000075C0: D3B240A8 18035106
	v_pk_add_f32 v[168:169], v[8:9], v[168:169]                // 0000000075C8: D3B240A8 18035108
	v_pk_add_f32 v[168:169], v[10:11], v[168:169]              // 0000000075D0: D3B240A8 1803510A
	v_pk_add_f32 v[168:169], v[12:13], v[168:169]              // 0000000075D8: D3B240A8 1803510C
	v_pk_add_f32 v[168:169], v[14:15], v[168:169]              // 0000000075E0: D3B240A8 1803510E
	v_pk_add_f32 v[168:169], v[16:17], v[168:169]              // 0000000075E8: D3B240A8 18035110
	v_pk_add_f32 v[168:169], v[18:19], v[168:169]              // 0000000075F0: D3B240A8 18035112
	v_add_f32_e32 v168, v169, v168                             // 0000000075F8: 035151A9
	v_mul_f32_e32 v170, v162, v170                             // 0000000075FC: 0B5555A2
	v_mov_b32_e32 v171, 0                                      // 000000007600: 7F560280
	v_pk_add_f32 v[170:171], v[20:21], v[170:171]              // 000000007604: D3B240AA 18035514
	v_pk_add_f32 v[170:171], v[22:23], v[170:171]              // 00000000760C: D3B240AA 18035516
	v_pk_add_f32 v[170:171], v[24:25], v[170:171]              // 000000007614: D3B240AA 18035518
	v_pk_add_f32 v[170:171], v[26:27], v[170:171]              // 00000000761C: D3B240AA 1803551A
	v_pk_add_f32 v[170:171], v[28:29], v[170:171]              // 000000007624: D3B240AA 1803551C
	v_pk_add_f32 v[170:171], v[30:31], v[170:171]              // 00000000762C: D3B240AA 1803551E
	v_pk_add_f32 v[170:171], v[32:33], v[170:171]              // 000000007634: D3B240AA 18035520
	v_pk_add_f32 v[170:171], v[34:35], v[170:171]              // 00000000763C: D3B240AA 18035522
	v_add_f32_e32 v170, v171, v170                             // 000000007644: 035555AB
	v_mul_f32_e32 v172, v164, v172                             // 000000007648: 0B5959A4
	v_mov_b32_e32 v173, 0                                      // 00000000764C: 7F5A0280
	v_pk_add_f32 v[172:173], v[36:37], v[172:173]              // 000000007650: D3B240AC 18035924
	v_pk_add_f32 v[172:173], v[38:39], v[172:173]              // 000000007658: D3B240AC 18035926
	;; [unrolled: 1-line block ×3, first 2 shown]
	v_pk_add_f32 v[172:173], v[42:43], v[172:173]              // 000000007668: D3B240AC 1803592A
	v_pk_add_f32 v[172:173], v[44:45], v[172:173]              // 000000007670: D3B240AC 1803592C
	v_pk_add_f32 v[172:173], v[46:47], v[172:173]              // 000000007678: D3B240AC 1803592E
	v_pk_add_f32 v[172:173], v[48:49], v[172:173]              // 000000007680: D3B240AC 18035930
	v_pk_add_f32 v[172:173], v[50:51], v[172:173]              // 000000007688: D3B240AC 18035932
	v_add_f32_e32 v172, v173, v172                             // 000000007690: 035959AD
	v_mul_f32_e32 v174, v166, v174                             // 000000007694: 0B5D5DA6
	v_mov_b32_e32 v175, 0                                      // 000000007698: 7F5E0280
	v_pk_add_f32 v[174:175], v[52:53], v[174:175]              // 00000000769C: D3B240AE 18035D34
	v_pk_add_f32 v[174:175], v[54:55], v[174:175]              // 0000000076A4: D3B240AE 18035D36
	v_pk_add_f32 v[174:175], v[56:57], v[174:175]              // 0000000076AC: D3B240AE 18035D38
	v_pk_add_f32 v[174:175], v[58:59], v[174:175]              // 0000000076B4: D3B240AE 18035D3A
	v_pk_add_f32 v[174:175], v[60:61], v[174:175]              // 0000000076BC: D3B240AE 18035D3C
	v_pk_add_f32 v[174:175], v[62:63], v[174:175]              // 0000000076C4: D3B240AE 18035D3E
	v_pk_add_f32 v[174:175], v[64:65], v[174:175]              // 0000000076CC: D3B240AE 18035D40
	v_pk_add_f32 v[174:175], v[66:67], v[174:175]              // 0000000076D4: D3B240AE 18035D42
	v_add_f32_e32 v174, v175, v174                             // 0000000076DC: 035D5DAF
	v_mul_f32_dpp v4, v142, v4 row_newbcast:0 row_mask:0xf bank_mask:0xf// 0000000076E0: 0A0808FA FF01508E
	v_mul_f32_dpp v5, v142, v5 row_newbcast:1 row_mask:0xf bank_mask:0xf// 0000000076E8: 0A0A0AFA FF01518E
	v_mul_f32_dpp v6, v142, v6 row_newbcast:2 row_mask:0xf bank_mask:0xf// 0000000076F0: 0A0C0CFA FF01528E
	v_mul_f32_dpp v7, v142, v7 row_newbcast:3 row_mask:0xf bank_mask:0xf// 0000000076F8: 0A0E0EFA FF01538E
	v_mul_f32_dpp v8, v142, v8 row_newbcast:4 row_mask:0xf bank_mask:0xf// 000000007700: 0A1010FA FF01548E
	v_mul_f32_dpp v9, v142, v9 row_newbcast:5 row_mask:0xf bank_mask:0xf// 000000007708: 0A1212FA FF01558E
	v_mul_f32_dpp v10, v142, v10 row_newbcast:6 row_mask:0xf bank_mask:0xf// 000000007710: 0A1414FA FF01568E
	v_mul_f32_dpp v11, v142, v11 row_newbcast:7 row_mask:0xf bank_mask:0xf// 000000007718: 0A1616FA FF01578E
	v_mul_f32_dpp v12, v142, v12 row_newbcast:8 row_mask:0xf bank_mask:0xf// 000000007720: 0A1818FA FF01588E
	v_mul_f32_dpp v13, v142, v13 row_newbcast:9 row_mask:0xf bank_mask:0xf// 000000007728: 0A1A1AFA FF01598E
	v_mul_f32_dpp v14, v142, v14 row_newbcast:10 row_mask:0xf bank_mask:0xf// 000000007730: 0A1C1CFA FF015A8E
	v_mul_f32_dpp v15, v142, v15 row_newbcast:11 row_mask:0xf bank_mask:0xf// 000000007738: 0A1E1EFA FF015B8E
	v_mul_f32_dpp v16, v142, v16 row_newbcast:12 row_mask:0xf bank_mask:0xf// 000000007740: 0A2020FA FF015C8E
	v_mul_f32_dpp v17, v142, v17 row_newbcast:13 row_mask:0xf bank_mask:0xf// 000000007748: 0A2222FA FF015D8E
	v_mul_f32_dpp v18, v142, v18 row_newbcast:14 row_mask:0xf bank_mask:0xf// 000000007750: 0A2424FA FF015E8E
	v_mul_f32_dpp v19, v142, v19 row_newbcast:15 row_mask:0xf bank_mask:0xf// 000000007758: 0A2626FA FF015F8E
	v_mul_f32_dpp v20, v142, v20 row_newbcast:0 row_mask:0xf bank_mask:0xf// 000000007760: 0A2828FA FF01508E
	v_mul_f32_dpp v21, v142, v21 row_newbcast:1 row_mask:0xf bank_mask:0xf// 000000007768: 0A2A2AFA FF01518E
	v_mul_f32_dpp v22, v142, v22 row_newbcast:2 row_mask:0xf bank_mask:0xf// 000000007770: 0A2C2CFA FF01528E
	v_mul_f32_dpp v23, v142, v23 row_newbcast:3 row_mask:0xf bank_mask:0xf// 000000007778: 0A2E2EFA FF01538E
	v_mul_f32_dpp v24, v142, v24 row_newbcast:4 row_mask:0xf bank_mask:0xf// 000000007780: 0A3030FA FF01548E
	v_mul_f32_dpp v25, v142, v25 row_newbcast:5 row_mask:0xf bank_mask:0xf// 000000007788: 0A3232FA FF01558E
	v_mul_f32_dpp v26, v142, v26 row_newbcast:6 row_mask:0xf bank_mask:0xf// 000000007790: 0A3434FA FF01568E
	v_mul_f32_dpp v27, v142, v27 row_newbcast:7 row_mask:0xf bank_mask:0xf// 000000007798: 0A3636FA FF01578E
	v_mul_f32_dpp v28, v142, v28 row_newbcast:8 row_mask:0xf bank_mask:0xf// 0000000077A0: 0A3838FA FF01588E
	v_mul_f32_dpp v29, v142, v29 row_newbcast:9 row_mask:0xf bank_mask:0xf// 0000000077A8: 0A3A3AFA FF01598E
	v_mul_f32_dpp v30, v142, v30 row_newbcast:10 row_mask:0xf bank_mask:0xf// 0000000077B0: 0A3C3CFA FF015A8E
	v_mul_f32_dpp v31, v142, v31 row_newbcast:11 row_mask:0xf bank_mask:0xf// 0000000077B8: 0A3E3EFA FF015B8E
	v_mul_f32_dpp v32, v142, v32 row_newbcast:12 row_mask:0xf bank_mask:0xf// 0000000077C0: 0A4040FA FF015C8E
	v_mul_f32_dpp v33, v142, v33 row_newbcast:13 row_mask:0xf bank_mask:0xf// 0000000077C8: 0A4242FA FF015D8E
	v_mul_f32_dpp v34, v142, v34 row_newbcast:14 row_mask:0xf bank_mask:0xf// 0000000077D0: 0A4444FA FF015E8E
	v_mul_f32_dpp v35, v142, v35 row_newbcast:15 row_mask:0xf bank_mask:0xf// 0000000077D8: 0A4646FA FF015F8E
	v_mul_f32_dpp v36, v142, v36 row_newbcast:0 row_mask:0xf bank_mask:0xf// 0000000077E0: 0A4848FA FF01508E
	v_mul_f32_dpp v37, v142, v37 row_newbcast:1 row_mask:0xf bank_mask:0xf// 0000000077E8: 0A4A4AFA FF01518E
	v_mul_f32_dpp v38, v142, v38 row_newbcast:2 row_mask:0xf bank_mask:0xf// 0000000077F0: 0A4C4CFA FF01528E
	v_mul_f32_dpp v39, v142, v39 row_newbcast:3 row_mask:0xf bank_mask:0xf// 0000000077F8: 0A4E4EFA FF01538E
	v_mul_f32_dpp v40, v142, v40 row_newbcast:4 row_mask:0xf bank_mask:0xf// 000000007800: 0A5050FA FF01548E
	v_mul_f32_dpp v41, v142, v41 row_newbcast:5 row_mask:0xf bank_mask:0xf// 000000007808: 0A5252FA FF01558E
	v_mul_f32_dpp v42, v142, v42 row_newbcast:6 row_mask:0xf bank_mask:0xf// 000000007810: 0A5454FA FF01568E
	v_mul_f32_dpp v43, v142, v43 row_newbcast:7 row_mask:0xf bank_mask:0xf// 000000007818: 0A5656FA FF01578E
	v_mul_f32_dpp v44, v142, v44 row_newbcast:8 row_mask:0xf bank_mask:0xf// 000000007820: 0A5858FA FF01588E
	v_mul_f32_dpp v45, v142, v45 row_newbcast:9 row_mask:0xf bank_mask:0xf// 000000007828: 0A5A5AFA FF01598E
	v_mul_f32_dpp v46, v142, v46 row_newbcast:10 row_mask:0xf bank_mask:0xf// 000000007830: 0A5C5CFA FF015A8E
	v_mul_f32_dpp v47, v142, v47 row_newbcast:11 row_mask:0xf bank_mask:0xf// 000000007838: 0A5E5EFA FF015B8E
	v_mul_f32_dpp v48, v142, v48 row_newbcast:12 row_mask:0xf bank_mask:0xf// 000000007840: 0A6060FA FF015C8E
	v_mul_f32_dpp v49, v142, v49 row_newbcast:13 row_mask:0xf bank_mask:0xf// 000000007848: 0A6262FA FF015D8E
	v_mul_f32_dpp v50, v142, v50 row_newbcast:14 row_mask:0xf bank_mask:0xf// 000000007850: 0A6464FA FF015E8E
	v_mul_f32_dpp v51, v142, v51 row_newbcast:15 row_mask:0xf bank_mask:0xf// 000000007858: 0A6666FA FF015F8E
	v_mul_f32_dpp v52, v142, v52 row_newbcast:0 row_mask:0xf bank_mask:0xf// 000000007860: 0A6868FA FF01508E
	v_mul_f32_dpp v53, v142, v53 row_newbcast:1 row_mask:0xf bank_mask:0xf// 000000007868: 0A6A6AFA FF01518E
	v_mul_f32_dpp v54, v142, v54 row_newbcast:2 row_mask:0xf bank_mask:0xf// 000000007870: 0A6C6CFA FF01528E
	v_mul_f32_dpp v55, v142, v55 row_newbcast:3 row_mask:0xf bank_mask:0xf// 000000007878: 0A6E6EFA FF01538E
	v_mul_f32_dpp v56, v142, v56 row_newbcast:4 row_mask:0xf bank_mask:0xf// 000000007880: 0A7070FA FF01548E
	v_mul_f32_dpp v57, v142, v57 row_newbcast:5 row_mask:0xf bank_mask:0xf// 000000007888: 0A7272FA FF01558E
	v_mul_f32_dpp v58, v142, v58 row_newbcast:6 row_mask:0xf bank_mask:0xf// 000000007890: 0A7474FA FF01568E
	v_mul_f32_dpp v59, v142, v59 row_newbcast:7 row_mask:0xf bank_mask:0xf// 000000007898: 0A7676FA FF01578E
	v_mul_f32_dpp v60, v142, v60 row_newbcast:8 row_mask:0xf bank_mask:0xf// 0000000078A0: 0A7878FA FF01588E
	v_mul_f32_dpp v61, v142, v61 row_newbcast:9 row_mask:0xf bank_mask:0xf// 0000000078A8: 0A7A7AFA FF01598E
	v_mul_f32_dpp v62, v142, v62 row_newbcast:10 row_mask:0xf bank_mask:0xf// 0000000078B0: 0A7C7CFA FF015A8E
	v_mul_f32_dpp v63, v142, v63 row_newbcast:11 row_mask:0xf bank_mask:0xf// 0000000078B8: 0A7E7EFA FF015B8E
	v_mul_f32_dpp v64, v142, v64 row_newbcast:12 row_mask:0xf bank_mask:0xf// 0000000078C0: 0A8080FA FF015C8E
	v_mul_f32_dpp v65, v142, v65 row_newbcast:13 row_mask:0xf bank_mask:0xf// 0000000078C8: 0A8282FA FF015D8E
	v_mul_f32_dpp v66, v142, v66 row_newbcast:14 row_mask:0xf bank_mask:0xf// 0000000078D0: 0A8484FA FF015E8E
	v_mul_f32_dpp v67, v142, v67 row_newbcast:15 row_mask:0xf bank_mask:0xf// 0000000078D8: 0A8686FA FF015F8E
	v_mov_b32_e32 v176, 0x358637bd                             // 0000000078E0: 7F6002FF 358637BD
	v_max3_f32 v176, |v4|, |v5|, v176                          // 0000000078E8: D1D303B0 06C20B04
	v_max3_f32 v176, |v6|, |v7|, v176                          // 0000000078F0: D1D303B0 06C20F06
	v_max3_f32 v176, |v8|, |v9|, v176                          // 0000000078F8: D1D303B0 06C21308
	v_max3_f32 v176, |v10|, |v11|, v176                        // 000000007900: D1D303B0 06C2170A
	v_max3_f32 v176, |v12|, |v13|, v176                        // 000000007908: D1D303B0 06C21B0C
	v_max3_f32 v176, |v14|, |v15|, v176                        // 000000007910: D1D303B0 06C21F0E
	v_max3_f32 v176, |v16|, |v17|, v176                        // 000000007918: D1D303B0 06C22310
	v_max3_f32 v176, |v18|, |v19|, v176                        // 000000007920: D1D303B0 06C22712
	v_mov_b32_e32 v177, 0x358637bd                             // 000000007928: 7F6202FF 358637BD
	v_max3_f32 v177, |v20|, |v21|, v177                        // 000000007930: D1D303B1 06C62B14
	v_max3_f32 v177, |v22|, |v23|, v177                        // 000000007938: D1D303B1 06C62F16
	v_max3_f32 v177, |v24|, |v25|, v177                        // 000000007940: D1D303B1 06C63318
	v_max3_f32 v177, |v26|, |v27|, v177                        // 000000007948: D1D303B1 06C6371A
	v_max3_f32 v177, |v28|, |v29|, v177                        // 000000007950: D1D303B1 06C63B1C
	v_max3_f32 v177, |v30|, |v31|, v177                        // 000000007958: D1D303B1 06C63F1E
	v_max3_f32 v177, |v32|, |v33|, v177                        // 000000007960: D1D303B1 06C64320
	v_max3_f32 v177, |v34|, |v35|, v177                        // 000000007968: D1D303B1 06C64722
	v_mov_b32_e32 v178, 0x358637bd                             // 000000007970: 7F6402FF 358637BD
	v_max3_f32 v178, |v36|, |v37|, v178                        // 000000007978: D1D303B2 06CA4B24
	v_max3_f32 v178, |v38|, |v39|, v178                        // 000000007980: D1D303B2 06CA4F26
	v_max3_f32 v178, |v40|, |v41|, v178                        // 000000007988: D1D303B2 06CA5328
	v_max3_f32 v178, |v42|, |v43|, v178                        // 000000007990: D1D303B2 06CA572A
	v_max3_f32 v178, |v44|, |v45|, v178                        // 000000007998: D1D303B2 06CA5B2C
	v_max3_f32 v178, |v46|, |v47|, v178                        // 0000000079A0: D1D303B2 06CA5F2E
	v_max3_f32 v178, |v48|, |v49|, v178                        // 0000000079A8: D1D303B2 06CA6330
	v_max3_f32 v178, |v50|, |v51|, v178                        // 0000000079B0: D1D303B2 06CA6732
	v_mov_b32_e32 v179, 0x358637bd                             // 0000000079B8: 7F6602FF 358637BD
	v_max3_f32 v179, |v52|, |v53|, v179                        // 0000000079C0: D1D303B3 06CE6B34
	v_max3_f32 v179, |v54|, |v55|, v179                        // 0000000079C8: D1D303B3 06CE6F36
	v_max3_f32 v179, |v56|, |v57|, v179                        // 0000000079D0: D1D303B3 06CE7338
	v_max3_f32 v179, |v58|, |v59|, v179                        // 0000000079D8: D1D303B3 06CE773A
	v_max3_f32 v179, |v60|, |v61|, v179                        // 0000000079E0: D1D303B3 06CE7B3C
	v_max3_f32 v179, |v62|, |v63|, v179                        // 0000000079E8: D1D303B3 06CE7F3E
	v_max3_f32 v179, |v64|, |v65|, v179                        // 0000000079F0: D1D303B3 06CE8340
	v_max3_f32 v179, |v66|, |v67|, v179                        // 0000000079F8: D1D303B3 06CE8742
	ds_bpermute_b32 v180, v200, v176                           // 000000007A00: D87E0000 B400B0C8
	ds_bpermute_b32 v181, v201, v176                           // 000000007A08: D87E0000 B500B0C9
	ds_bpermute_b32 v182, v202, v176                           // 000000007A10: D87E0000 B600B0CA
	ds_bpermute_b32 v183, v200, v177                           // 000000007A18: D87E0000 B700B1C8
	ds_bpermute_b32 v184, v201, v177                           // 000000007A20: D87E0000 B800B1C9
	ds_bpermute_b32 v185, v202, v177                           // 000000007A28: D87E0000 B900B1CA
	ds_bpermute_b32 v186, v200, v178                           // 000000007A30: D87E0000 BA00B2C8
	ds_bpermute_b32 v187, v201, v178                           // 000000007A38: D87E0000 BB00B2C9
	ds_bpermute_b32 v188, v202, v178                           // 000000007A40: D87E0000 BC00B2CA
	ds_bpermute_b32 v189, v200, v179                           // 000000007A48: D87E0000 BD00B3C8
	ds_bpermute_b32 v190, v201, v179                           // 000000007A50: D87E0000 BE00B3C9
	ds_bpermute_b32 v191, v202, v179                           // 000000007A58: D87E0000 BF00B3CA
	s_waitcnt lgkmcnt(9)                                       // 000000007A60: BF8CC97F
	v_max3_f32 v176, v180, v181, v176                          // 000000007A64: D1D300B0 06C36BB4
	v_max_f32_e32 v176, v182, v176                             // 000000007A6C: 176161B6
	s_waitcnt lgkmcnt(6)                                       // 000000007A70: BF8CC67F
	v_max3_f32 v177, v183, v184, v177                          // 000000007A74: D1D300B1 06C771B7
	v_max_f32_e32 v177, v185, v177                             // 000000007A7C: 176363B9
	s_waitcnt lgkmcnt(3)                                       // 000000007A80: BF8CC37F
	v_max3_f32 v178, v186, v187, v178                          // 000000007A84: D1D300B2 06CB77BA
	v_max_f32_e32 v178, v188, v178                             // 000000007A8C: 176565BC
	s_waitcnt lgkmcnt(0)                                       // 000000007A90: BF8CC07F
	v_max3_f32 v179, v189, v190, v179                          // 000000007A94: D1D300B3 06CF7DBD
	v_max_f32_e32 v179, v191, v179                             // 000000007A9C: 176767BF
	ds_write_b128 v247, v[176:179] offset:4096                 // 000000007AA0: D9BE1000 0000B0F7
	buffer_load_dword v141, v231, s[20:23], 0 offen            // 000000007AA8: E0501000 80058DE7
	s_waitcnt lgkmcnt(0)                                       // 000000007AB0: BF8CC07F
	s_barrier                                                  // 000000007AB4: BF8A0000
	buffer_load_dword v143, v232, s[24:27], 0 offen            // 000000007AB8: E0501000 80068FE8
	ds_read_b128 v[180:183], v248 offset:4096                  // 000000007AC0: D9FE1000 B40000F8
	ds_read_b128 v[184:187], v248 offset:4352                  // 000000007AC8: D9FE1100 B80000F8
	ds_read_b128 v[188:191], v248 offset:4608                  // 000000007AD0: D9FE1200 BC0000F8
	ds_read_b128 v[192:195], v248 offset:4864                  // 000000007AD8: D9FE1300 C00000F8
	s_waitcnt lgkmcnt(0)                                       // 000000007AE0: BF8CC07F
	v_max3_f32 v176, v180, v184, v176                          // 000000007AE4: D1D300B0 06C371B4
	v_max3_f32 v177, v181, v185, v177                          // 000000007AEC: D1D300B1 06C773B5
	v_max3_f32 v178, v182, v186, v178                          // 000000007AF4: D1D300B2 06CB75B6
	v_max3_f32 v179, v183, v187, v179                          // 000000007AFC: D1D300B3 06CF77B7
	v_max3_f32 v176, v188, v192, v176                          // 000000007B04: D1D300B0 06C381BC
	v_max3_f32 v177, v189, v193, v177                          // 000000007B0C: D1D300B1 06C783BD
	v_max3_f32 v178, v190, v194, v178                          // 000000007B14: D1D300B2 06CB85BE
	v_max3_f32 v179, v191, v195, v179                          // 000000007B1C: D1D300B3 06CF87BF
	v_rcp_f32_e32 v176, v176                                   // 000000007B24: 7F6045B0
	v_rcp_f32_e32 v177, v177                                   // 000000007B28: 7F6245B1
	v_rcp_f32_e32 v178, v178                                   // 000000007B2C: 7F6445B2
	v_rcp_f32_e32 v179, v179                                   // 000000007B30: 7F6645B3
	v_mul_f32_e32 v176, 0x43700000, v176                       // 000000007B34: 0B6160FF 43700000
	v_mul_f32_e32 v177, 0x43700000, v177                       // 000000007B3C: 0B6362FF 43700000
	v_mul_f32_e32 v178, 0x43700000, v178                       // 000000007B44: 0B6564FF 43700000
	v_mul_f32_e32 v179, 0x43700000, v179                       // 000000007B4C: 0B6766FF 43700000
	v_mul_f32_e32 v4, v176, v4                                 // 000000007B54: 0A0809B0
	v_mul_f32_e32 v5, v176, v5                                 // 000000007B58: 0A0A0BB0
	v_mul_f32_e32 v6, v176, v6                                 // 000000007B5C: 0A0C0DB0
	v_mul_f32_e32 v7, v176, v7                                 // 000000007B60: 0A0E0FB0
	v_mul_f32_e32 v8, v176, v8                                 // 000000007B64: 0A1011B0
	v_mul_f32_e32 v9, v176, v9                                 // 000000007B68: 0A1213B0
	v_mul_f32_e32 v10, v176, v10                               // 000000007B6C: 0A1415B0
	v_mul_f32_e32 v11, v176, v11                               // 000000007B70: 0A1617B0
	v_mul_f32_e32 v12, v176, v12                               // 000000007B74: 0A1819B0
	v_mul_f32_e32 v13, v176, v13                               // 000000007B78: 0A1A1BB0
	v_mul_f32_e32 v14, v176, v14                               // 000000007B7C: 0A1C1DB0
	v_mul_f32_e32 v15, v176, v15                               // 000000007B80: 0A1E1FB0
	v_mul_f32_e32 v16, v176, v16                               // 000000007B84: 0A2021B0
	v_mul_f32_e32 v17, v176, v17                               // 000000007B88: 0A2223B0
	v_mul_f32_e32 v18, v176, v18                               // 000000007B8C: 0A2425B0
	v_mul_f32_e32 v19, v176, v19                               // 000000007B90: 0A2627B0
	v_mul_f32_e32 v20, v177, v20                               // 000000007B94: 0A2829B1
	v_mul_f32_e32 v21, v177, v21                               // 000000007B98: 0A2A2BB1
	v_mul_f32_e32 v22, v177, v22                               // 000000007B9C: 0A2C2DB1
	v_mul_f32_e32 v23, v177, v23                               // 000000007BA0: 0A2E2FB1
	v_mul_f32_e32 v24, v177, v24                               // 000000007BA4: 0A3031B1
	v_mul_f32_e32 v25, v177, v25                               // 000000007BA8: 0A3233B1
	v_mul_f32_e32 v26, v177, v26                               // 000000007BAC: 0A3435B1
	v_mul_f32_e32 v27, v177, v27                               // 000000007BB0: 0A3637B1
	v_mul_f32_e32 v28, v177, v28                               // 000000007BB4: 0A3839B1
	v_mul_f32_e32 v29, v177, v29                               // 000000007BB8: 0A3A3BB1
	v_mul_f32_e32 v30, v177, v30                               // 000000007BBC: 0A3C3DB1
	v_mul_f32_e32 v31, v177, v31                               // 000000007BC0: 0A3E3FB1
	v_mul_f32_e32 v32, v177, v32                               // 000000007BC4: 0A4041B1
	v_mul_f32_e32 v33, v177, v33                               // 000000007BC8: 0A4243B1
	v_mul_f32_e32 v34, v177, v34                               // 000000007BCC: 0A4445B1
	v_mul_f32_e32 v35, v177, v35                               // 000000007BD0: 0A4647B1
	v_mul_f32_e32 v36, v178, v36                               // 000000007BD4: 0A4849B2
	v_mul_f32_e32 v37, v178, v37                               // 000000007BD8: 0A4A4BB2
	v_mul_f32_e32 v38, v178, v38                               // 000000007BDC: 0A4C4DB2
	v_mul_f32_e32 v39, v178, v39                               // 000000007BE0: 0A4E4FB2
	v_mul_f32_e32 v40, v178, v40                               // 000000007BE4: 0A5051B2
	v_mul_f32_e32 v41, v178, v41                               // 000000007BE8: 0A5253B2
	v_mul_f32_e32 v42, v178, v42                               // 000000007BEC: 0A5455B2
	v_mul_f32_e32 v43, v178, v43                               // 000000007BF0: 0A5657B2
	v_mul_f32_e32 v44, v178, v44                               // 000000007BF4: 0A5859B2
	v_mul_f32_e32 v45, v178, v45                               // 000000007BF8: 0A5A5BB2
	v_mul_f32_e32 v46, v178, v46                               // 000000007BFC: 0A5C5DB2
	v_mul_f32_e32 v47, v178, v47                               // 000000007C00: 0A5E5FB2
	v_mul_f32_e32 v48, v178, v48                               // 000000007C04: 0A6061B2
	v_mul_f32_e32 v49, v178, v49                               // 000000007C08: 0A6263B2
	v_mul_f32_e32 v50, v178, v50                               // 000000007C0C: 0A6465B2
	v_mul_f32_e32 v51, v178, v51                               // 000000007C10: 0A6667B2
	v_mul_f32_e32 v52, v179, v52                               // 000000007C14: 0A6869B3
	v_mul_f32_e32 v53, v179, v53                               // 000000007C18: 0A6A6BB3
	v_mul_f32_e32 v54, v179, v54                               // 000000007C1C: 0A6C6DB3
	v_mul_f32_e32 v55, v179, v55                               // 000000007C20: 0A6E6FB3
	v_mul_f32_e32 v56, v179, v56                               // 000000007C24: 0A7071B3
	v_mul_f32_e32 v57, v179, v57                               // 000000007C28: 0A7273B3
	v_mul_f32_e32 v58, v179, v58                               // 000000007C2C: 0A7475B3
	v_mul_f32_e32 v59, v179, v59                               // 000000007C30: 0A7677B3
	v_mul_f32_e32 v60, v179, v60                               // 000000007C34: 0A7879B3
	v_mul_f32_e32 v61, v179, v61                               // 000000007C38: 0A7A7BB3
	v_mul_f32_e32 v62, v179, v62                               // 000000007C3C: 0A7C7DB3
	v_mul_f32_e32 v63, v179, v63                               // 000000007C40: 0A7E7FB3
	v_mul_f32_e32 v64, v179, v64                               // 000000007C44: 0A8081B3
	v_mul_f32_e32 v65, v179, v65                               // 000000007C48: 0A8283B3
	v_mul_f32_e32 v66, v179, v66                               // 000000007C4C: 0A8485B3
	v_mul_f32_e32 v67, v179, v67                               // 000000007C50: 0A8687B3
	v_cvt_pk_fp8_f32 v4, v4, v5                                // 000000007C54: D2A20004 00020B04
	v_cvt_pk_fp8_f32 v4, v6, v7 op_sel:[0,0,1]                 // 000000007C5C: D2A24004 00020F06
	v_cvt_pk_fp8_f32 v5, v8, v9                                // 000000007C64: D2A20005 00021308
	v_cvt_pk_fp8_f32 v5, v10, v11 op_sel:[0,0,1]               // 000000007C6C: D2A24005 0002170A
	v_cvt_pk_fp8_f32 v6, v12, v13                              // 000000007C74: D2A20006 00021B0C
	v_cvt_pk_fp8_f32 v6, v14, v15 op_sel:[0,0,1]               // 000000007C7C: D2A24006 00021F0E
	v_cvt_pk_fp8_f32 v7, v16, v17                              // 000000007C84: D2A20007 00022310
	v_cvt_pk_fp8_f32 v7, v18, v19 op_sel:[0,0,1]               // 000000007C8C: D2A24007 00022712
	v_cvt_pk_fp8_f32 v8, v20, v21                              // 000000007C94: D2A20008 00022B14
	v_cvt_pk_fp8_f32 v8, v22, v23 op_sel:[0,0,1]               // 000000007C9C: D2A24008 00022F16
	v_cvt_pk_fp8_f32 v9, v24, v25                              // 000000007CA4: D2A20009 00023318
	v_cvt_pk_fp8_f32 v9, v26, v27 op_sel:[0,0,1]               // 000000007CAC: D2A24009 0002371A
	v_cvt_pk_fp8_f32 v10, v28, v29                             // 000000007CB4: D2A2000A 00023B1C
	v_cvt_pk_fp8_f32 v10, v30, v31 op_sel:[0,0,1]              // 000000007CBC: D2A2400A 00023F1E
	v_cvt_pk_fp8_f32 v11, v32, v33                             // 000000007CC4: D2A2000B 00024320
	v_cvt_pk_fp8_f32 v11, v34, v35 op_sel:[0,0,1]              // 000000007CCC: D2A2400B 00024722
	v_cvt_pk_fp8_f32 v12, v36, v37                             // 000000007CD4: D2A2000C 00024B24
	v_cvt_pk_fp8_f32 v12, v38, v39 op_sel:[0,0,1]              // 000000007CDC: D2A2400C 00024F26
	v_cvt_pk_fp8_f32 v13, v40, v41                             // 000000007CE4: D2A2000D 00025328
	v_cvt_pk_fp8_f32 v13, v42, v43 op_sel:[0,0,1]              // 000000007CEC: D2A2400D 0002572A
	v_cvt_pk_fp8_f32 v14, v44, v45                             // 000000007CF4: D2A2000E 00025B2C
	v_cvt_pk_fp8_f32 v14, v46, v47 op_sel:[0,0,1]              // 000000007CFC: D2A2400E 00025F2E
	v_cvt_pk_fp8_f32 v15, v48, v49                             // 000000007D04: D2A2000F 00026330
	v_cvt_pk_fp8_f32 v15, v50, v51 op_sel:[0,0,1]              // 000000007D0C: D2A2400F 00026732
	v_cvt_pk_fp8_f32 v16, v52, v53                             // 000000007D14: D2A20010 00026B34
	v_cvt_pk_fp8_f32 v16, v54, v55 op_sel:[0,0,1]              // 000000007D1C: D2A24010 00026F36
	v_cvt_pk_fp8_f32 v17, v56, v57                             // 000000007D24: D2A20011 00027338
	v_cvt_pk_fp8_f32 v17, v58, v59 op_sel:[0,0,1]              // 000000007D2C: D2A24011 0002773A
	v_cvt_pk_fp8_f32 v18, v60, v61                             // 000000007D34: D2A20012 00027B3C
	v_cvt_pk_fp8_f32 v18, v62, v63 op_sel:[0,0,1]              // 000000007D3C: D2A24012 00027F3E
	v_cvt_pk_fp8_f32 v19, v64, v65                             // 000000007D44: D2A20013 00028340
	v_cvt_pk_fp8_f32 v19, v66, v67 op_sel:[0,0,1]              // 000000007D4C: D2A24013 00028742
	ds_write_b32 v249, v4 offset:8192                          // 000000007D54: D81A2000 000004F9
	ds_write_b32 v249, v5 offset:9216                          // 000000007D5C: D81A2400 000005F9
	ds_write_b32 v249, v6 offset:10240                         // 000000007D64: D81A2800 000006F9
	ds_write_b32 v249, v7 offset:11264                         // 000000007D6C: D81A2C00 000007F9
	ds_write_b32 v249, v8 offset:12288                         // 000000007D74: D81A3000 000008F9
	ds_write_b32 v249, v9 offset:13312                         // 000000007D7C: D81A3400 000009F9
	ds_write_b32 v249, v10 offset:14336                        // 000000007D84: D81A3800 00000AF9
	ds_write_b32 v249, v11 offset:15360                        // 000000007D8C: D81A3C00 00000BF9
	ds_write_b32 v249, v12 offset:16384                        // 000000007D94: D81A4000 00000CF9
	ds_write_b32 v249, v13 offset:17408                        // 000000007D9C: D81A4400 00000DF9
	ds_write_b32 v249, v14 offset:18432                        // 000000007DA4: D81A4800 00000EF9
	ds_write_b32 v249, v15 offset:19456                        // 000000007DAC: D81A4C00 00000FF9
	ds_write_b32 v249, v16 offset:20480                        // 000000007DB4: D81A5000 000010F9
	ds_write_b32 v249, v17 offset:21504                        // 000000007DBC: D81A5400 000011F9
	ds_write_b32 v249, v18 offset:22528                        // 000000007DC4: D81A5800 000012F9
	ds_write_b32 v249, v19 offset:23552                        // 000000007DCC: D81A5C00 000013F9
	v_rcp_f32_e32 v144, v176                                   // 000000007DD4: 7F2045B0
	v_rcp_f32_e32 v146, v177                                   // 000000007DD8: 7F2445B1
	v_rcp_f32_e32 v148, v178                                   // 000000007DDC: 7F2845B2
	v_rcp_f32_e32 v150, v179                                   // 000000007DE0: 7F2C45B3
	v_mov_b32_e32 v145, v144                                   // 000000007DE4: 7F220390
	v_mov_b32_e32 v147, v146                                   // 000000007DE8: 7F260392
	v_mov_b32_e32 v149, v148                                   // 000000007DEC: 7F2A0394
	v_mov_b32_e32 v151, v150                                   // 000000007DF0: 7F2E0396
	v_pk_add_f32 v[100:101], v[100:101], v[68:69]              // 000000007DF4: D3B24064 18028964
	v_pk_add_f32 v[102:103], v[102:103], v[70:71]              // 000000007DFC: D3B24066 18028D66
	v_pk_add_f32 v[104:105], v[104:105], v[72:73]              // 000000007E04: D3B24068 18029168
	v_pk_add_f32 v[106:107], v[106:107], v[74:75]              // 000000007E0C: D3B2406A 1802956A
	v_pk_add_f32 v[108:109], v[108:109], v[76:77]              // 000000007E14: D3B2406C 1802996C
	v_pk_add_f32 v[110:111], v[110:111], v[78:79]              // 000000007E1C: D3B2406E 18029D6E
	v_pk_add_f32 v[112:113], v[112:113], v[80:81]              // 000000007E24: D3B24070 1802A170
	v_pk_add_f32 v[114:115], v[114:115], v[82:83]              // 000000007E2C: D3B24072 1802A572
	v_pk_add_f32 v[116:117], v[116:117], v[84:85]              // 000000007E34: D3B24074 1802A974
	v_pk_add_f32 v[118:119], v[118:119], v[86:87]              // 000000007E3C: D3B24076 1802AD76
	v_pk_add_f32 v[120:121], v[120:121], v[88:89]              // 000000007E44: D3B24078 1802B178
	v_pk_add_f32 v[122:123], v[122:123], v[90:91]              // 000000007E4C: D3B2407A 1802B57A
	v_pk_add_f32 v[124:125], v[124:125], v[92:93]              // 000000007E54: D3B2407C 1802B97C
	v_pk_add_f32 v[126:127], v[126:127], v[94:95]              // 000000007E5C: D3B2407E 1802BD7E
	v_pk_add_f32 v[128:129], v[128:129], v[96:97]              // 000000007E64: D3B24080 1802C180
	v_pk_add_f32 v[130:131], v[130:131], v[98:99]              // 000000007E6C: D3B24082 1802C582
	s_waitcnt lgkmcnt(0)                                       // 000000007E74: BF8CC07F
	s_barrier                                                  // 000000007E78: BF8A0000
	ds_read_b128 v[4:7], v250 offset:8192                      // 000000007E7C: D9FE2000 040000FA
	ds_read_b128 v[8:11], v250 offset:9216                     // 000000007E84: D9FE2400 080000FA
	ds_read_b128 v[12:15], v250 offset:10240                   // 000000007E8C: D9FE2800 0C0000FA
	ds_read_b128 v[16:19], v250 offset:11264                   // 000000007E94: D9FE2C00 100000FA
	ds_read_b128 v[20:23], v250 offset:12288                   // 000000007E9C: D9FE3000 140000FA
	ds_read_b128 v[24:27], v250 offset:13312                   // 000000007EA4: D9FE3400 180000FA
	ds_read_b128 v[28:31], v250 offset:14336                   // 000000007EAC: D9FE3800 1C0000FA
	ds_read_b128 v[32:35], v250 offset:15360                   // 000000007EB4: D9FE3C00 200000FA
	ds_read_b128 v[36:39], v250 offset:16384                   // 000000007EBC: D9FE4000 240000FA
	ds_read_b128 v[40:43], v250 offset:17408                   // 000000007EC4: D9FE4400 280000FA
	ds_read_b128 v[44:47], v250 offset:18432                   // 000000007ECC: D9FE4800 2C0000FA
	ds_read_b128 v[48:51], v250 offset:19456                   // 000000007ED4: D9FE4C00 300000FA
	ds_read_b128 v[52:55], v250 offset:20480                   // 000000007EDC: D9FE5000 340000FA
	ds_read_b128 v[56:59], v250 offset:21504                   // 000000007EE4: D9FE5400 380000FA
	ds_read_b128 v[60:63], v250 offset:22528                   // 000000007EEC: D9FE5800 3C0000FA
	ds_read_b128 v[64:67], v250 offset:23552                   // 000000007EF4: D9FE5C00 400000FA
	s_waitcnt vmcnt(10)                                        // 000000007EFC: BF8C0F7A
	s_waitcnt vmcnt(63) expcnt(7) lgkmcnt(15)                  // 000000007F00: BF8CCF7F
	v_mfma_f32_16x16x32_fp8_fp8 v[68:71], a[96:97], v[4:5], 0  // 000000007F04: D3F30044 0A020960
	v_mfma_f32_16x16x32_fp8_fp8 v[72:75], a[112:113], v[4:5], 0// 000000007F0C: D3F30048 0A020970
	v_mfma_f32_16x16x32_fp8_fp8 v[68:71], a[98:99], v[6:7], v[68:71]// 000000007F14: D3F30044 0D120D62
	buffer_load_dwordx4 a[128:131], v227, s[16:19], 0 offen    // 000000007F1C: E05C1000 808480E3
	v_mfma_f32_16x16x32_fp8_fp8 v[72:75], a[114:115], v[6:7], v[72:75]// 000000007F24: D3F30048 0D220D72
	s_waitcnt lgkmcnt(14)                                      // 000000007F2C: BF8CCE7F
	v_mfma_f32_16x16x32_fp8_fp8 v[68:71], a[100:101], v[8:9], v[68:71]// 000000007F30: D3F30044 0D121164
	v_mfma_f32_16x16x32_fp8_fp8 v[72:75], a[116:117], v[8:9], v[72:75]// 000000007F38: D3F30048 0D221174
	v_mfma_f32_16x16x32_fp8_fp8 v[68:71], a[102:103], v[10:11], v[68:71]// 000000007F40: D3F30044 0D121566
	buffer_load_dwordx4 a[132:135], v228, s[16:19], 0 offen    // 000000007F48: E05C1000 808484E4
	v_mfma_f32_16x16x32_fp8_fp8 v[72:75], a[118:119], v[10:11], v[72:75]// 000000007F50: D3F30048 0D221576
	s_waitcnt lgkmcnt(13)                                      // 000000007F58: BF8CCD7F
	v_mfma_f32_16x16x32_fp8_fp8 v[68:71], a[104:105], v[12:13], v[68:71]// 000000007F5C: D3F30044 0D121968
	v_mfma_f32_16x16x32_fp8_fp8 v[72:75], a[120:121], v[12:13], v[72:75]// 000000007F64: D3F30048 0D221978
	v_mfma_f32_16x16x32_fp8_fp8 v[68:71], a[106:107], v[14:15], v[68:71]// 000000007F6C: D3F30044 0D121D6A
	buffer_load_dwordx4 a[136:139], v229, s[16:19], 0 offen    // 000000007F74: E05C1000 808488E5
	v_mfma_f32_16x16x32_fp8_fp8 v[72:75], a[122:123], v[14:15], v[72:75]// 000000007F7C: D3F30048 0D221D7A
	s_waitcnt lgkmcnt(12)                                      // 000000007F84: BF8CCC7F
	v_mfma_f32_16x16x32_fp8_fp8 v[68:71], a[108:109], v[16:17], v[68:71]// 000000007F88: D3F30044 0D12216C
	v_mfma_f32_16x16x32_fp8_fp8 v[72:75], a[124:125], v[16:17], v[72:75]// 000000007F90: D3F30048 0D22217C
	v_mfma_f32_16x16x32_fp8_fp8 v[68:71], a[110:111], v[18:19], v[68:71]// 000000007F98: D3F30044 0D12256E
	buffer_load_dwordx4 a[140:143], v230, s[16:19], 0 offen    // 000000007FA0: E05C1000 80848CE6
	v_mfma_f32_16x16x32_fp8_fp8 v[72:75], a[126:127], v[18:19], v[72:75]// 000000007FA8: D3F30048 0D22257E
	s_waitcnt lgkmcnt(11)                                      // 000000007FB0: BF8CCB7F
	v_mfma_f32_16x16x32_fp8_fp8 v[76:79], a[96:97], v[20:21], 0// 000000007FB4: D3F3004C 0A022960
	v_mfma_f32_16x16x32_fp8_fp8 v[80:83], a[112:113], v[20:21], 0// 000000007FBC: D3F30050 0A022970
	v_mfma_f32_16x16x32_fp8_fp8 v[76:79], a[98:99], v[22:23], v[76:79]// 000000007FC4: D3F3004C 0D322D62
	buffer_load_dwordx4 a[144:147], v227, s[16:19], 0 offen offset:1024// 000000007FCC: E05C1400 808490E3
	v_mfma_f32_16x16x32_fp8_fp8 v[80:83], a[114:115], v[22:23], v[80:83]// 000000007FD4: D3F30050 0D422D72
	s_waitcnt lgkmcnt(10)                                      // 000000007FDC: BF8CCA7F
	v_mfma_f32_16x16x32_fp8_fp8 v[76:79], a[100:101], v[24:25], v[76:79]// 000000007FE0: D3F3004C 0D323164
	v_mfma_f32_16x16x32_fp8_fp8 v[80:83], a[116:117], v[24:25], v[80:83]// 000000007FE8: D3F30050 0D423174
	v_mfma_f32_16x16x32_fp8_fp8 v[76:79], a[102:103], v[26:27], v[76:79]// 000000007FF0: D3F3004C 0D323566
	buffer_load_dwordx4 a[148:151], v228, s[16:19], 0 offen offset:1024// 000000007FF8: E05C1400 808494E4
	v_mfma_f32_16x16x32_fp8_fp8 v[80:83], a[118:119], v[26:27], v[80:83]// 000000008000: D3F30050 0D423576
	s_waitcnt lgkmcnt(9)                                       // 000000008008: BF8CC97F
	v_mfma_f32_16x16x32_fp8_fp8 v[76:79], a[104:105], v[28:29], v[76:79]// 00000000800C: D3F3004C 0D323968
	v_mfma_f32_16x16x32_fp8_fp8 v[80:83], a[120:121], v[28:29], v[80:83]// 000000008014: D3F30050 0D423978
	v_mfma_f32_16x16x32_fp8_fp8 v[76:79], a[106:107], v[30:31], v[76:79]// 00000000801C: D3F3004C 0D323D6A
	buffer_load_dwordx4 a[152:155], v229, s[16:19], 0 offen offset:1024// 000000008024: E05C1400 808498E5
	v_mfma_f32_16x16x32_fp8_fp8 v[80:83], a[122:123], v[30:31], v[80:83]// 00000000802C: D3F30050 0D423D7A
	s_waitcnt lgkmcnt(8)                                       // 000000008034: BF8CC87F
	v_mfma_f32_16x16x32_fp8_fp8 v[76:79], a[108:109], v[32:33], v[76:79]// 000000008038: D3F3004C 0D32416C
	v_mfma_f32_16x16x32_fp8_fp8 v[80:83], a[124:125], v[32:33], v[80:83]// 000000008040: D3F30050 0D42417C
	v_mfma_f32_16x16x32_fp8_fp8 v[76:79], a[110:111], v[34:35], v[76:79]// 000000008048: D3F3004C 0D32456E
	buffer_load_dwordx4 a[156:159], v230, s[16:19], 0 offen offset:1024// 000000008050: E05C1400 80849CE6
	v_mfma_f32_16x16x32_fp8_fp8 v[80:83], a[126:127], v[34:35], v[80:83]// 000000008058: D3F30050 0D42457E
	s_waitcnt lgkmcnt(7)                                       // 000000008060: BF8CC77F
	v_mfma_f32_16x16x32_fp8_fp8 v[84:87], a[96:97], v[36:37], 0// 000000008064: D3F30054 0A024960
	v_mfma_f32_16x16x32_fp8_fp8 v[88:91], a[112:113], v[36:37], 0// 00000000806C: D3F30058 0A024970
	v_mfma_f32_16x16x32_fp8_fp8 v[84:87], a[98:99], v[38:39], v[84:87]// 000000008074: D3F30054 0D524D62
	v_mfma_f32_16x16x32_fp8_fp8 v[88:91], a[114:115], v[38:39], v[88:91]// 00000000807C: D3F30058 0D624D72
	s_waitcnt lgkmcnt(6)                                       // 000000008084: BF8CC67F
	v_mfma_f32_16x16x32_fp8_fp8 v[84:87], a[100:101], v[40:41], v[84:87]// 000000008088: D3F30054 0D525164
	v_mfma_f32_16x16x32_fp8_fp8 v[88:91], a[116:117], v[40:41], v[88:91]// 000000008090: D3F30058 0D625174
	v_mfma_f32_16x16x32_fp8_fp8 v[84:87], a[102:103], v[42:43], v[84:87]// 000000008098: D3F30054 0D525566
	v_mfma_f32_16x16x32_fp8_fp8 v[88:91], a[118:119], v[42:43], v[88:91]// 0000000080A0: D3F30058 0D625576
	s_waitcnt lgkmcnt(5)                                       // 0000000080A8: BF8CC57F
	v_mfma_f32_16x16x32_fp8_fp8 v[84:87], a[104:105], v[44:45], v[84:87]// 0000000080AC: D3F30054 0D525968
	v_mfma_f32_16x16x32_fp8_fp8 v[88:91], a[120:121], v[44:45], v[88:91]// 0000000080B4: D3F30058 0D625978
	v_mfma_f32_16x16x32_fp8_fp8 v[84:87], a[106:107], v[46:47], v[84:87]// 0000000080BC: D3F30054 0D525D6A
	v_mfma_f32_16x16x32_fp8_fp8 v[88:91], a[122:123], v[46:47], v[88:91]// 0000000080C4: D3F30058 0D625D7A
	s_waitcnt lgkmcnt(4)                                       // 0000000080CC: BF8CC47F
	v_mfma_f32_16x16x32_fp8_fp8 v[84:87], a[108:109], v[48:49], v[84:87]// 0000000080D0: D3F30054 0D52616C
	v_mfma_f32_16x16x32_fp8_fp8 v[88:91], a[124:125], v[48:49], v[88:91]// 0000000080D8: D3F30058 0D62617C
	v_mfma_f32_16x16x32_fp8_fp8 v[84:87], a[110:111], v[50:51], v[84:87]// 0000000080E0: D3F30054 0D52656E
	v_mfma_f32_16x16x32_fp8_fp8 v[88:91], a[126:127], v[50:51], v[88:91]// 0000000080E8: D3F30058 0D62657E
	s_waitcnt lgkmcnt(3)                                       // 0000000080F0: BF8CC37F
	v_mfma_f32_16x16x32_fp8_fp8 v[92:95], a[96:97], v[52:53], 0// 0000000080F4: D3F3005C 0A026960
	v_mfma_f32_16x16x32_fp8_fp8 v[96:99], a[112:113], v[52:53], 0// 0000000080FC: D3F30060 0A026970
	v_mfma_f32_16x16x32_fp8_fp8 v[92:95], a[98:99], v[54:55], v[92:95]// 000000008104: D3F3005C 0D726D62
	v_mfma_f32_16x16x32_fp8_fp8 v[96:99], a[114:115], v[54:55], v[96:99]// 00000000810C: D3F30060 0D826D72
	s_waitcnt lgkmcnt(2)                                       // 000000008114: BF8CC27F
	v_mfma_f32_16x16x32_fp8_fp8 v[92:95], a[100:101], v[56:57], v[92:95]// 000000008118: D3F3005C 0D727164
	v_mfma_f32_16x16x32_fp8_fp8 v[96:99], a[116:117], v[56:57], v[96:99]// 000000008120: D3F30060 0D827174
	v_mfma_f32_16x16x32_fp8_fp8 v[92:95], a[102:103], v[58:59], v[92:95]// 000000008128: D3F3005C 0D727566
	v_mfma_f32_16x16x32_fp8_fp8 v[96:99], a[118:119], v[58:59], v[96:99]// 000000008130: D3F30060 0D827576
	s_waitcnt lgkmcnt(1)                                       // 000000008138: BF8CC17F
	v_mfma_f32_16x16x32_fp8_fp8 v[92:95], a[104:105], v[60:61], v[92:95]// 00000000813C: D3F3005C 0D727968
	v_mfma_f32_16x16x32_fp8_fp8 v[96:99], a[120:121], v[60:61], v[96:99]// 000000008144: D3F30060 0D827978
	v_mfma_f32_16x16x32_fp8_fp8 v[92:95], a[106:107], v[62:63], v[92:95]// 00000000814C: D3F3005C 0D727D6A
	v_mfma_f32_16x16x32_fp8_fp8 v[96:99], a[122:123], v[62:63], v[96:99]// 000000008154: D3F30060 0D827D7A
	s_waitcnt lgkmcnt(0)                                       // 00000000815C: BF8CC07F
	v_mfma_f32_16x16x32_fp8_fp8 v[92:95], a[108:109], v[64:65], v[92:95]// 000000008160: D3F3005C 0D72816C
	v_mfma_f32_16x16x32_fp8_fp8 v[96:99], a[124:125], v[64:65], v[96:99]// 000000008168: D3F30060 0D82817C
	v_mfma_f32_16x16x32_fp8_fp8 v[92:95], a[110:111], v[66:67], v[92:95]// 000000008170: D3F3005C 0D72856E
	v_mfma_f32_16x16x32_fp8_fp8 v[96:99], a[126:127], v[66:67], v[96:99]// 000000008178: D3F30060 0D82857E
	s_addk_i32 s64, 0x100                                      // 000000008180: B7400100
	s_cmp_lt_i32 s64, s63                                      // 000000008184: BF043F40
	s_cbranch_scc0 label_500F                                  // 000000008188: BF8439AC
	s_waitcnt vmcnt(10)                                        // 00000000818C: BF8C0F7A
	v_mfma_f32_16x16x32_fp8_fp8 v[4:7], a[64:65], a[0:1], 0    // 000000008190: D3F30004 1A020140
	s_add_u32 s12, s86, s69                                    // 000000008198: 800C4556
	s_addc_u32 s13, s87, 0                                     // 00000000819C: 820D8057
	v_mfma_f32_16x16x32_fp8_fp8 v[4:7], a[66:67], a[2:3], v[4:7]// 0000000081A0: D3F30004 1C120542
	s_add_u32 s16, s88, s70                                    // 0000000081A8: 80104658
	s_addc_u32 s17, s89, 0                                     // 0000000081AC: 82118059
	v_mfma_f32_16x16x32_fp8_fp8 v[4:7], a[68:69], a[4:5], v[4:7]// 0000000081B0: D3F30004 1C120944
	buffer_load_dwordx4 a[32:35], v225, s[12:15], 0 offen      // 0000000081B8: E05C1000 808320E1
	v_mfma_f32_16x16x32_fp8_fp8 v[4:7], a[70:71], a[6:7], v[4:7]// 0000000081C0: D3F30004 1C120D46
	s_add_u32 s20, s90, s71                                    // 0000000081C8: 8014475A
	s_addc_u32 s21, s91, 0                                     // 0000000081CC: 8215805B
	v_mfma_f32_16x16x32_fp8_fp8 v[8:11], a[72:73], a[0:1], 0   // 0000000081D0: D3F30008 1A020148
	s_add_u32 s24, s92, s71                                    // 0000000081D8: 8018475C
	s_addc_u32 s25, s93, 0                                     // 0000000081DC: 8219805D
	v_mfma_f32_16x16x32_fp8_fp8 v[8:11], a[74:75], a[2:3], v[8:11]// 0000000081E0: D3F30008 1C22054A
	s_add_u32 s69, s69, 0x1000                                 // 0000000081E8: 8045FF45 00001000
	s_add_u32 s70, s70, 0x8000                                 // 0000000081F0: 8046FF46 00008000
	v_mfma_f32_16x16x32_fp8_fp8 v[8:11], a[76:77], a[4:5], v[8:11]// 0000000081F8: D3F30008 1C22094C
	buffer_load_dwordx4 a[36:39], v226, s[12:15], 0 offen      // 000000008200: E05C1000 808324E2
	v_mfma_f32_16x16x32_fp8_fp8 v[8:11], a[78:79], a[6:7], v[8:11]// 000000008208: D3F30008 1C220D4E
	s_add_u32 s71, s71, 0x400                                  // 000000008210: 8047FF47 00000400
	v_mfma_f32_16x16x32_fp8_fp8 v[12:15], a[80:81], a[0:1], 0  // 000000008218: D3F3000C 1A020150
	v_mfma_f32_16x16x32_fp8_fp8 v[12:15], a[82:83], a[2:3], v[12:15]// 000000008220: D3F3000C 1C320552
	v_mfma_f32_16x16x32_fp8_fp8 v[12:15], a[84:85], a[4:5], v[12:15]// 000000008228: D3F3000C 1C320954
	buffer_load_dwordx4 a[40:43], v225, s[12:15], 0 offen offset:1024// 000000008230: E05C1400 808328E1
	v_mfma_f32_16x16x32_fp8_fp8 v[12:15], a[86:87], a[6:7], v[12:15]// 000000008238: D3F3000C 1C320D56
	v_mfma_f32_16x16x32_fp8_fp8 v[16:19], a[88:89], a[0:1], 0  // 000000008240: D3F30010 1A020158
	v_mfma_f32_16x16x32_fp8_fp8 v[16:19], a[90:91], a[2:3], v[16:19]// 000000008248: D3F30010 1C42055A
	v_mfma_f32_16x16x32_fp8_fp8 v[16:19], a[92:93], a[4:5], v[16:19]// 000000008250: D3F30010 1C42095C
	buffer_load_dwordx4 a[44:47], v226, s[12:15], 0 offen offset:1024// 000000008258: E05C1400 80832CE2
	v_mfma_f32_16x16x32_fp8_fp8 v[16:19], a[94:95], a[6:7], v[16:19]// 000000008260: D3F30010 1C420D5E
	v_mfma_f32_16x16x32_fp8_fp8 v[20:23], a[64:65], a[8:9], 0  // 000000008268: D3F30014 1A021140
	v_mfma_f32_16x16x32_fp8_fp8 v[20:23], a[66:67], a[10:11], v[20:23]// 000000008270: D3F30014 1C521542
	v_mfma_f32_16x16x32_fp8_fp8 v[20:23], a[68:69], a[12:13], v[20:23]// 000000008278: D3F30014 1C521944
	buffer_load_dwordx4 a[48:51], v225, s[12:15], 0 offen offset:2048// 000000008280: E05C1800 808330E1
	v_mfma_f32_16x16x32_fp8_fp8 v[20:23], a[70:71], a[14:15], v[20:23]// 000000008288: D3F30014 1C521D46
	v_mfma_f32_16x16x32_fp8_fp8 v[24:27], a[72:73], a[8:9], 0  // 000000008290: D3F30018 1A021148
	v_mfma_f32_16x16x32_fp8_fp8 v[24:27], a[74:75], a[10:11], v[24:27]// 000000008298: D3F30018 1C62154A
	v_mfma_f32_16x16x32_fp8_fp8 v[24:27], a[76:77], a[12:13], v[24:27]// 0000000082A0: D3F30018 1C62194C
	buffer_load_dwordx4 a[52:55], v226, s[12:15], 0 offen offset:2048// 0000000082A8: E05C1800 808334E2
	v_mfma_f32_16x16x32_fp8_fp8 v[24:27], a[78:79], a[14:15], v[24:27]// 0000000082B0: D3F30018 1C621D4E
	v_mfma_f32_16x16x32_fp8_fp8 v[28:31], a[80:81], a[8:9], 0  // 0000000082B8: D3F3001C 1A021150
	v_mfma_f32_16x16x32_fp8_fp8 v[28:31], a[82:83], a[10:11], v[28:31]// 0000000082C0: D3F3001C 1C721552
	v_mfma_f32_16x16x32_fp8_fp8 v[28:31], a[84:85], a[12:13], v[28:31]// 0000000082C8: D3F3001C 1C721954
	buffer_load_dwordx4 a[56:59], v225, s[12:15], 0 offen offset:3072// 0000000082D0: E05C1C00 808338E1
	v_mfma_f32_16x16x32_fp8_fp8 v[28:31], a[86:87], a[14:15], v[28:31]// 0000000082D8: D3F3001C 1C721D56
	v_mfma_f32_16x16x32_fp8_fp8 v[32:35], a[88:89], a[8:9], 0  // 0000000082E0: D3F30020 1A021158
	v_mfma_f32_16x16x32_fp8_fp8 v[32:35], a[90:91], a[10:11], v[32:35]// 0000000082E8: D3F30020 1C82155A
	v_mfma_f32_16x16x32_fp8_fp8 v[32:35], a[92:93], a[12:13], v[32:35]// 0000000082F0: D3F30020 1C82195C
	buffer_load_dwordx4 a[60:63], v226, s[12:15], 0 offen offset:3072// 0000000082F8: E05C1C00 80833CE2
	v_mfma_f32_16x16x32_fp8_fp8 v[32:35], a[94:95], a[14:15], v[32:35]// 000000008300: D3F30020 1C821D5E
	v_mfma_f32_16x16x32_fp8_fp8 v[36:39], a[64:65], a[16:17], 0// 000000008308: D3F30024 1A022140
	v_mfma_f32_16x16x32_fp8_fp8 v[36:39], a[66:67], a[18:19], v[36:39]// 000000008310: D3F30024 1C922542
	v_mfma_f32_16x16x32_fp8_fp8 v[36:39], a[68:69], a[20:21], v[36:39]// 000000008318: D3F30024 1C922944
	v_mfma_f32_16x16x32_fp8_fp8 v[36:39], a[70:71], a[22:23], v[36:39]// 000000008320: D3F30024 1C922D46
	v_mfma_f32_16x16x32_fp8_fp8 v[40:43], a[72:73], a[16:17], 0// 000000008328: D3F30028 1A022148
	v_mfma_f32_16x16x32_fp8_fp8 v[40:43], a[74:75], a[18:19], v[40:43]// 000000008330: D3F30028 1CA2254A
	v_mfma_f32_16x16x32_fp8_fp8 v[40:43], a[76:77], a[20:21], v[40:43]// 000000008338: D3F30028 1CA2294C
	v_mfma_f32_16x16x32_fp8_fp8 v[40:43], a[78:79], a[22:23], v[40:43]// 000000008340: D3F30028 1CA22D4E
	v_mfma_f32_16x16x32_fp8_fp8 v[44:47], a[80:81], a[16:17], 0// 000000008348: D3F3002C 1A022150
	v_mfma_f32_16x16x32_fp8_fp8 v[44:47], a[82:83], a[18:19], v[44:47]// 000000008350: D3F3002C 1CB22552
	v_mfma_f32_16x16x32_fp8_fp8 v[44:47], a[84:85], a[20:21], v[44:47]// 000000008358: D3F3002C 1CB22954
	v_mfma_f32_16x16x32_fp8_fp8 v[44:47], a[86:87], a[22:23], v[44:47]// 000000008360: D3F3002C 1CB22D56
	v_mfma_f32_16x16x32_fp8_fp8 v[48:51], a[88:89], a[16:17], 0// 000000008368: D3F30030 1A022158
	v_mfma_f32_16x16x32_fp8_fp8 v[48:51], a[90:91], a[18:19], v[48:51]// 000000008370: D3F30030 1CC2255A
	v_mfma_f32_16x16x32_fp8_fp8 v[48:51], a[92:93], a[20:21], v[48:51]// 000000008378: D3F30030 1CC2295C
	v_mfma_f32_16x16x32_fp8_fp8 v[48:51], a[94:95], a[22:23], v[48:51]// 000000008380: D3F30030 1CC22D5E
	v_mfma_f32_16x16x32_fp8_fp8 v[52:55], a[64:65], a[24:25], 0// 000000008388: D3F30034 1A023140
	v_mfma_f32_16x16x32_fp8_fp8 v[52:55], a[66:67], a[26:27], v[52:55]// 000000008390: D3F30034 1CD23542
	v_mfma_f32_16x16x32_fp8_fp8 v[52:55], a[68:69], a[28:29], v[52:55]// 000000008398: D3F30034 1CD23944
	v_mfma_f32_16x16x32_fp8_fp8 v[52:55], a[70:71], a[30:31], v[52:55]// 0000000083A0: D3F30034 1CD23D46
	v_mfma_f32_16x16x32_fp8_fp8 v[56:59], a[72:73], a[24:25], 0// 0000000083A8: D3F30038 1A023148
	v_mfma_f32_16x16x32_fp8_fp8 v[56:59], a[74:75], a[26:27], v[56:59]// 0000000083B0: D3F30038 1CE2354A
	v_mfma_f32_16x16x32_fp8_fp8 v[56:59], a[76:77], a[28:29], v[56:59]// 0000000083B8: D3F30038 1CE2394C
	v_mfma_f32_16x16x32_fp8_fp8 v[56:59], a[78:79], a[30:31], v[56:59]// 0000000083C0: D3F30038 1CE23D4E
	v_mfma_f32_16x16x32_fp8_fp8 v[60:63], a[80:81], a[24:25], 0// 0000000083C8: D3F3003C 1A023150
	v_mfma_f32_16x16x32_fp8_fp8 v[60:63], a[82:83], a[26:27], v[60:63]// 0000000083D0: D3F3003C 1CF23552
	v_mfma_f32_16x16x32_fp8_fp8 v[60:63], a[84:85], a[28:29], v[60:63]// 0000000083D8: D3F3003C 1CF23954
	v_mfma_f32_16x16x32_fp8_fp8 v[60:63], a[86:87], a[30:31], v[60:63]// 0000000083E0: D3F3003C 1CF23D56
	v_mfma_f32_16x16x32_fp8_fp8 v[64:67], a[88:89], a[24:25], 0// 0000000083E8: D3F30040 1A023158
	v_mfma_f32_16x16x32_fp8_fp8 v[64:67], a[90:91], a[26:27], v[64:67]// 0000000083F0: D3F30040 1D02355A
	v_mfma_f32_16x16x32_fp8_fp8 v[64:67], a[92:93], a[28:29], v[64:67]// 0000000083F8: D3F30040 1D02395C
	v_mfma_f32_16x16x32_fp8_fp8 v[64:67], a[94:95], a[30:31], v[64:67]// 000000008400: D3F30040 1D023D5E
	s_waitcnt vmcnt(16)                                        // 000000008408: BF8C4F70
	v_pk_mul_f32 v[4:5], v[132:133], v[4:5]                    // 00000000840C: D3B14004 18020984
	v_pk_mul_f32 v[6:7], v[132:133], v[6:7]                    // 000000008414: D3B14006 18020D84
	v_mul_f32_dpp v4, v141, v4 row_newbcast:0 row_mask:0xf bank_mask:0xf// 00000000841C: 0A0808FA FF01508D
	v_mul_f32_dpp v5, v141, v5 row_newbcast:1 row_mask:0xf bank_mask:0xf// 000000008424: 0A0A0AFA FF01518D
	v_mul_f32_dpp v6, v141, v6 row_newbcast:2 row_mask:0xf bank_mask:0xf// 00000000842C: 0A0C0CFA FF01528D
	v_mul_f32_dpp v7, v141, v7 row_newbcast:3 row_mask:0xf bank_mask:0xf// 000000008434: 0A0E0EFA FF01538D
	v_pk_mul_f32 v[8:9], v[132:133], v[8:9]                    // 00000000843C: D3B14008 18021184
	v_pk_mul_f32 v[10:11], v[132:133], v[10:11]                // 000000008444: D3B1400A 18021584
	v_mul_f32_dpp v8, v141, v8 row_newbcast:4 row_mask:0xf bank_mask:0xf// 00000000844C: 0A1010FA FF01548D
	v_mul_f32_dpp v9, v141, v9 row_newbcast:5 row_mask:0xf bank_mask:0xf// 000000008454: 0A1212FA FF01558D
	v_mul_f32_dpp v10, v141, v10 row_newbcast:6 row_mask:0xf bank_mask:0xf// 00000000845C: 0A1414FA FF01568D
	v_mul_f32_dpp v11, v141, v11 row_newbcast:7 row_mask:0xf bank_mask:0xf// 000000008464: 0A1616FA FF01578D
	v_pk_mul_f32 v[12:13], v[132:133], v[12:13]                // 00000000846C: D3B1400C 18021984
	v_pk_mul_f32 v[14:15], v[132:133], v[14:15]                // 000000008474: D3B1400E 18021D84
	v_mul_f32_dpp v12, v141, v12 row_newbcast:8 row_mask:0xf bank_mask:0xf// 00000000847C: 0A1818FA FF01588D
	v_mul_f32_dpp v13, v141, v13 row_newbcast:9 row_mask:0xf bank_mask:0xf// 000000008484: 0A1A1AFA FF01598D
	v_mul_f32_dpp v14, v141, v14 row_newbcast:10 row_mask:0xf bank_mask:0xf// 00000000848C: 0A1C1CFA FF015A8D
	v_mul_f32_dpp v15, v141, v15 row_newbcast:11 row_mask:0xf bank_mask:0xf// 000000008494: 0A1E1EFA FF015B8D
	v_pk_mul_f32 v[16:17], v[132:133], v[16:17]                // 00000000849C: D3B14010 18022184
	v_pk_mul_f32 v[18:19], v[132:133], v[18:19]                // 0000000084A4: D3B14012 18022584
	v_mul_f32_dpp v16, v141, v16 row_newbcast:12 row_mask:0xf bank_mask:0xf// 0000000084AC: 0A2020FA FF015C8D
	v_mul_f32_dpp v17, v141, v17 row_newbcast:13 row_mask:0xf bank_mask:0xf// 0000000084B4: 0A2222FA FF015D8D
	v_mul_f32_dpp v18, v141, v18 row_newbcast:14 row_mask:0xf bank_mask:0xf// 0000000084BC: 0A2424FA FF015E8D
	v_mul_f32_dpp v19, v141, v19 row_newbcast:15 row_mask:0xf bank_mask:0xf// 0000000084C4: 0A2626FA FF015F8D
	v_pk_mul_f32 v[20:21], v[134:135], v[20:21]                // 0000000084CC: D3B14014 18022986
	v_pk_mul_f32 v[22:23], v[134:135], v[22:23]                // 0000000084D4: D3B14016 18022D86
	v_mul_f32_dpp v20, v141, v20 row_newbcast:0 row_mask:0xf bank_mask:0xf// 0000000084DC: 0A2828FA FF01508D
	v_mul_f32_dpp v21, v141, v21 row_newbcast:1 row_mask:0xf bank_mask:0xf// 0000000084E4: 0A2A2AFA FF01518D
	v_mul_f32_dpp v22, v141, v22 row_newbcast:2 row_mask:0xf bank_mask:0xf// 0000000084EC: 0A2C2CFA FF01528D
	v_mul_f32_dpp v23, v141, v23 row_newbcast:3 row_mask:0xf bank_mask:0xf// 0000000084F4: 0A2E2EFA FF01538D
	v_pk_mul_f32 v[24:25], v[134:135], v[24:25]                // 0000000084FC: D3B14018 18023186
	v_pk_mul_f32 v[26:27], v[134:135], v[26:27]                // 000000008504: D3B1401A 18023586
	v_mul_f32_dpp v24, v141, v24 row_newbcast:4 row_mask:0xf bank_mask:0xf// 00000000850C: 0A3030FA FF01548D
	v_mul_f32_dpp v25, v141, v25 row_newbcast:5 row_mask:0xf bank_mask:0xf// 000000008514: 0A3232FA FF01558D
	v_mul_f32_dpp v26, v141, v26 row_newbcast:6 row_mask:0xf bank_mask:0xf// 00000000851C: 0A3434FA FF01568D
	v_mul_f32_dpp v27, v141, v27 row_newbcast:7 row_mask:0xf bank_mask:0xf// 000000008524: 0A3636FA FF01578D
	v_pk_mul_f32 v[28:29], v[134:135], v[28:29]                // 00000000852C: D3B1401C 18023986
	v_pk_mul_f32 v[30:31], v[134:135], v[30:31]                // 000000008534: D3B1401E 18023D86
	v_mul_f32_dpp v28, v141, v28 row_newbcast:8 row_mask:0xf bank_mask:0xf// 00000000853C: 0A3838FA FF01588D
	v_mul_f32_dpp v29, v141, v29 row_newbcast:9 row_mask:0xf bank_mask:0xf// 000000008544: 0A3A3AFA FF01598D
	v_mul_f32_dpp v30, v141, v30 row_newbcast:10 row_mask:0xf bank_mask:0xf// 00000000854C: 0A3C3CFA FF015A8D
	v_mul_f32_dpp v31, v141, v31 row_newbcast:11 row_mask:0xf bank_mask:0xf// 000000008554: 0A3E3EFA FF015B8D
	v_pk_mul_f32 v[32:33], v[134:135], v[32:33]                // 00000000855C: D3B14020 18024186
	v_pk_mul_f32 v[34:35], v[134:135], v[34:35]                // 000000008564: D3B14022 18024586
	v_mul_f32_dpp v32, v141, v32 row_newbcast:12 row_mask:0xf bank_mask:0xf// 00000000856C: 0A4040FA FF015C8D
	v_mul_f32_dpp v33, v141, v33 row_newbcast:13 row_mask:0xf bank_mask:0xf// 000000008574: 0A4242FA FF015D8D
	v_mul_f32_dpp v34, v141, v34 row_newbcast:14 row_mask:0xf bank_mask:0xf// 00000000857C: 0A4444FA FF015E8D
	v_mul_f32_dpp v35, v141, v35 row_newbcast:15 row_mask:0xf bank_mask:0xf// 000000008584: 0A4646FA FF015F8D
	v_pk_mul_f32 v[36:37], v[136:137], v[36:37]                // 00000000858C: D3B14024 18024988
	v_pk_mul_f32 v[38:39], v[136:137], v[38:39]                // 000000008594: D3B14026 18024D88
	v_mul_f32_dpp v36, v141, v36 row_newbcast:0 row_mask:0xf bank_mask:0xf// 00000000859C: 0A4848FA FF01508D
	v_mul_f32_dpp v37, v141, v37 row_newbcast:1 row_mask:0xf bank_mask:0xf// 0000000085A4: 0A4A4AFA FF01518D
	v_mul_f32_dpp v38, v141, v38 row_newbcast:2 row_mask:0xf bank_mask:0xf// 0000000085AC: 0A4C4CFA FF01528D
	v_mul_f32_dpp v39, v141, v39 row_newbcast:3 row_mask:0xf bank_mask:0xf// 0000000085B4: 0A4E4EFA FF01538D
	v_pk_mul_f32 v[40:41], v[136:137], v[40:41]                // 0000000085BC: D3B14028 18025188
	v_pk_mul_f32 v[42:43], v[136:137], v[42:43]                // 0000000085C4: D3B1402A 18025588
	v_mul_f32_dpp v40, v141, v40 row_newbcast:4 row_mask:0xf bank_mask:0xf// 0000000085CC: 0A5050FA FF01548D
	v_mul_f32_dpp v41, v141, v41 row_newbcast:5 row_mask:0xf bank_mask:0xf// 0000000085D4: 0A5252FA FF01558D
	v_mul_f32_dpp v42, v141, v42 row_newbcast:6 row_mask:0xf bank_mask:0xf// 0000000085DC: 0A5454FA FF01568D
	v_mul_f32_dpp v43, v141, v43 row_newbcast:7 row_mask:0xf bank_mask:0xf// 0000000085E4: 0A5656FA FF01578D
	v_pk_mul_f32 v[44:45], v[136:137], v[44:45]                // 0000000085EC: D3B1402C 18025988
	v_pk_mul_f32 v[46:47], v[136:137], v[46:47]                // 0000000085F4: D3B1402E 18025D88
	v_mul_f32_dpp v44, v141, v44 row_newbcast:8 row_mask:0xf bank_mask:0xf// 0000000085FC: 0A5858FA FF01588D
	v_mul_f32_dpp v45, v141, v45 row_newbcast:9 row_mask:0xf bank_mask:0xf// 000000008604: 0A5A5AFA FF01598D
	v_mul_f32_dpp v46, v141, v46 row_newbcast:10 row_mask:0xf bank_mask:0xf// 00000000860C: 0A5C5CFA FF015A8D
	v_mul_f32_dpp v47, v141, v47 row_newbcast:11 row_mask:0xf bank_mask:0xf// 000000008614: 0A5E5EFA FF015B8D
	v_pk_mul_f32 v[48:49], v[136:137], v[48:49]                // 00000000861C: D3B14030 18026188
	v_pk_mul_f32 v[50:51], v[136:137], v[50:51]                // 000000008624: D3B14032 18026588
	v_mul_f32_dpp v48, v141, v48 row_newbcast:12 row_mask:0xf bank_mask:0xf// 00000000862C: 0A6060FA FF015C8D
	v_mul_f32_dpp v49, v141, v49 row_newbcast:13 row_mask:0xf bank_mask:0xf// 000000008634: 0A6262FA FF015D8D
	v_mul_f32_dpp v50, v141, v50 row_newbcast:14 row_mask:0xf bank_mask:0xf// 00000000863C: 0A6464FA FF015E8D
	v_mul_f32_dpp v51, v141, v51 row_newbcast:15 row_mask:0xf bank_mask:0xf// 000000008644: 0A6666FA FF015F8D
	v_pk_mul_f32 v[52:53], v[138:139], v[52:53]                // 00000000864C: D3B14034 1802698A
	v_pk_mul_f32 v[54:55], v[138:139], v[54:55]                // 000000008654: D3B14036 18026D8A
	v_mul_f32_dpp v52, v141, v52 row_newbcast:0 row_mask:0xf bank_mask:0xf// 00000000865C: 0A6868FA FF01508D
	v_mul_f32_dpp v53, v141, v53 row_newbcast:1 row_mask:0xf bank_mask:0xf// 000000008664: 0A6A6AFA FF01518D
	v_mul_f32_dpp v54, v141, v54 row_newbcast:2 row_mask:0xf bank_mask:0xf// 00000000866C: 0A6C6CFA FF01528D
	v_mul_f32_dpp v55, v141, v55 row_newbcast:3 row_mask:0xf bank_mask:0xf// 000000008674: 0A6E6EFA FF01538D
	v_pk_mul_f32 v[56:57], v[138:139], v[56:57]                // 00000000867C: D3B14038 1802718A
	v_pk_mul_f32 v[58:59], v[138:139], v[58:59]                // 000000008684: D3B1403A 1802758A
	v_mul_f32_dpp v56, v141, v56 row_newbcast:4 row_mask:0xf bank_mask:0xf// 00000000868C: 0A7070FA FF01548D
	v_mul_f32_dpp v57, v141, v57 row_newbcast:5 row_mask:0xf bank_mask:0xf// 000000008694: 0A7272FA FF01558D
	v_mul_f32_dpp v58, v141, v58 row_newbcast:6 row_mask:0xf bank_mask:0xf// 00000000869C: 0A7474FA FF01568D
	v_mul_f32_dpp v59, v141, v59 row_newbcast:7 row_mask:0xf bank_mask:0xf// 0000000086A4: 0A7676FA FF01578D
	v_pk_mul_f32 v[60:61], v[138:139], v[60:61]                // 0000000086AC: D3B1403C 1802798A
	v_pk_mul_f32 v[62:63], v[138:139], v[62:63]                // 0000000086B4: D3B1403E 18027D8A
	v_mul_f32_dpp v60, v141, v60 row_newbcast:8 row_mask:0xf bank_mask:0xf// 0000000086BC: 0A7878FA FF01588D
	v_mul_f32_dpp v61, v141, v61 row_newbcast:9 row_mask:0xf bank_mask:0xf// 0000000086C4: 0A7A7AFA FF01598D
	v_mul_f32_dpp v62, v141, v62 row_newbcast:10 row_mask:0xf bank_mask:0xf// 0000000086CC: 0A7C7CFA FF015A8D
	v_mul_f32_dpp v63, v141, v63 row_newbcast:11 row_mask:0xf bank_mask:0xf// 0000000086D4: 0A7E7EFA FF015B8D
	v_pk_mul_f32 v[64:65], v[138:139], v[64:65]                // 0000000086DC: D3B14040 1802818A
	v_pk_mul_f32 v[66:67], v[138:139], v[66:67]                // 0000000086E4: D3B14042 1802858A
	v_mul_f32_dpp v64, v141, v64 row_newbcast:12 row_mask:0xf bank_mask:0xf// 0000000086EC: 0A8080FA FF015C8D
	v_mul_f32_dpp v65, v141, v65 row_newbcast:13 row_mask:0xf bank_mask:0xf// 0000000086F4: 0A8282FA FF015D8D
	v_mul_f32_dpp v66, v141, v66 row_newbcast:14 row_mask:0xf bank_mask:0xf// 0000000086FC: 0A8484FA FF015E8D
	v_mul_f32_dpp v67, v141, v67 row_newbcast:15 row_mask:0xf bank_mask:0xf// 000000008704: 0A8686FA FF015F8D
	v_mov_b32_e32 v176, v4                                     // 00000000870C: 7F600304
	v_max3_f32 v176, v4, v5, v176                              // 000000008710: D1D300B0 06C20B04
	v_max3_f32 v176, v6, v7, v176                              // 000000008718: D1D300B0 06C20F06
	v_max3_f32 v176, v8, v9, v176                              // 000000008720: D1D300B0 06C21308
	v_max3_f32 v176, v10, v11, v176                            // 000000008728: D1D300B0 06C2170A
	v_max3_f32 v176, v12, v13, v176                            // 000000008730: D1D300B0 06C21B0C
	v_max3_f32 v176, v14, v15, v176                            // 000000008738: D1D300B0 06C21F0E
	v_max3_f32 v176, v16, v17, v176                            // 000000008740: D1D300B0 06C22310
	v_max3_f32 v176, v18, v19, v176                            // 000000008748: D1D300B0 06C22712
	v_mov_b32_e32 v177, v20                                    // 000000008750: 7F620314
	v_max3_f32 v177, v20, v21, v177                            // 000000008754: D1D300B1 06C62B14
	v_max3_f32 v177, v22, v23, v177                            // 00000000875C: D1D300B1 06C62F16
	v_max3_f32 v177, v24, v25, v177                            // 000000008764: D1D300B1 06C63318
	v_max3_f32 v177, v26, v27, v177                            // 00000000876C: D1D300B1 06C6371A
	v_max3_f32 v177, v28, v29, v177                            // 000000008774: D1D300B1 06C63B1C
	v_max3_f32 v177, v30, v31, v177                            // 00000000877C: D1D300B1 06C63F1E
	v_max3_f32 v177, v32, v33, v177                            // 000000008784: D1D300B1 06C64320
	v_max3_f32 v177, v34, v35, v177                            // 00000000878C: D1D300B1 06C64722
	v_mov_b32_e32 v178, v36                                    // 000000008794: 7F640324
	v_max3_f32 v178, v36, v37, v178                            // 000000008798: D1D300B2 06CA4B24
	v_max3_f32 v178, v38, v39, v178                            // 0000000087A0: D1D300B2 06CA4F26
	v_max3_f32 v178, v40, v41, v178                            // 0000000087A8: D1D300B2 06CA5328
	v_max3_f32 v178, v42, v43, v178                            // 0000000087B0: D1D300B2 06CA572A
	v_max3_f32 v178, v44, v45, v178                            // 0000000087B8: D1D300B2 06CA5B2C
	v_max3_f32 v178, v46, v47, v178                            // 0000000087C0: D1D300B2 06CA5F2E
	v_max3_f32 v178, v48, v49, v178                            // 0000000087C8: D1D300B2 06CA6330
	v_max3_f32 v178, v50, v51, v178                            // 0000000087D0: D1D300B2 06CA6732
	v_mov_b32_e32 v179, v52                                    // 0000000087D8: 7F660334
	v_max3_f32 v179, v52, v53, v179                            // 0000000087DC: D1D300B3 06CE6B34
	v_max3_f32 v179, v54, v55, v179                            // 0000000087E4: D1D300B3 06CE6F36
	v_max3_f32 v179, v56, v57, v179                            // 0000000087EC: D1D300B3 06CE7338
	v_max3_f32 v179, v58, v59, v179                            // 0000000087F4: D1D300B3 06CE773A
	v_max3_f32 v179, v60, v61, v179                            // 0000000087FC: D1D300B3 06CE7B3C
	v_max3_f32 v179, v62, v63, v179                            // 000000008804: D1D300B3 06CE7F3E
	v_max3_f32 v179, v64, v65, v179                            // 00000000880C: D1D300B3 06CE8340
	v_max3_f32 v179, v66, v67, v179                            // 000000008814: D1D300B3 06CE8742
	ds_bpermute_b32 v180, v200, v176                           // 00000000881C: D87E0000 B400B0C8
	ds_bpermute_b32 v181, v201, v176                           // 000000008824: D87E0000 B500B0C9
	ds_bpermute_b32 v182, v202, v176                           // 00000000882C: D87E0000 B600B0CA
	ds_bpermute_b32 v183, v200, v177                           // 000000008834: D87E0000 B700B1C8
	ds_bpermute_b32 v184, v201, v177                           // 00000000883C: D87E0000 B800B1C9
	ds_bpermute_b32 v185, v202, v177                           // 000000008844: D87E0000 B900B1CA
	ds_bpermute_b32 v186, v200, v178                           // 00000000884C: D87E0000 BA00B2C8
	ds_bpermute_b32 v187, v201, v178                           // 000000008854: D87E0000 BB00B2C9
	ds_bpermute_b32 v188, v202, v178                           // 00000000885C: D87E0000 BC00B2CA
	ds_bpermute_b32 v189, v200, v179                           // 000000008864: D87E0000 BD00B3C8
	ds_bpermute_b32 v190, v201, v179                           // 00000000886C: D87E0000 BE00B3C9
	ds_bpermute_b32 v191, v202, v179                           // 000000008874: D87E0000 BF00B3CA
	v_pk_mul_f32 v[100:101], v[160:161], v[100:101]            // 00000000887C: D3B14064 1802C9A0
	v_pk_mul_f32 v[102:103], v[160:161], v[102:103]            // 000000008884: D3B14066 1802CDA0
	v_pk_mul_f32 v[104:105], v[160:161], v[104:105]            // 00000000888C: D3B14068 1802D1A0
	v_pk_mul_f32 v[106:107], v[160:161], v[106:107]            // 000000008894: D3B1406A 1802D5A0
	v_pk_mul_f32 v[108:109], v[162:163], v[108:109]            // 00000000889C: D3B1406C 1802D9A2
	v_pk_mul_f32 v[110:111], v[162:163], v[110:111]            // 0000000088A4: D3B1406E 1802DDA2
	v_pk_mul_f32 v[112:113], v[162:163], v[112:113]            // 0000000088AC: D3B14070 1802E1A2
	v_pk_mul_f32 v[114:115], v[162:163], v[114:115]            // 0000000088B4: D3B14072 1802E5A2
	v_pk_mul_f32 v[116:117], v[164:165], v[116:117]            // 0000000088BC: D3B14074 1802E9A4
	v_pk_mul_f32 v[118:119], v[164:165], v[118:119]            // 0000000088C4: D3B14076 1802EDA4
	v_pk_mul_f32 v[120:121], v[164:165], v[120:121]            // 0000000088CC: D3B14078 1802F1A4
	v_pk_mul_f32 v[122:123], v[164:165], v[122:123]            // 0000000088D4: D3B1407A 1802F5A4
	v_pk_mul_f32 v[124:125], v[166:167], v[124:125]            // 0000000088DC: D3B1407C 1802F9A6
	v_pk_mul_f32 v[126:127], v[166:167], v[126:127]            // 0000000088E4: D3B1407E 1802FDA6
	v_pk_mul_f32 v[128:129], v[166:167], v[128:129]            // 0000000088EC: D3B14080 180301A6
	v_pk_mul_f32 v[130:131], v[166:167], v[130:131]            // 0000000088F4: D3B14082 180305A6
	s_waitcnt lgkmcnt(9)                                       // 0000000088FC: BF8CC97F
	v_max3_f32 v176, v180, v181, v176                          // 000000008900: D1D300B0 06C36BB4
	v_max_f32_e32 v176, v182, v176                             // 000000008908: 176161B6
	s_waitcnt lgkmcnt(6)                                       // 00000000890C: BF8CC67F
	v_max3_f32 v177, v183, v184, v177                          // 000000008910: D1D300B1 06C771B7
	v_max_f32_e32 v177, v185, v177                             // 000000008918: 176363B9
	s_waitcnt lgkmcnt(3)                                       // 00000000891C: BF8CC37F
	v_max3_f32 v178, v186, v187, v178                          // 000000008920: D1D300B2 06CB77BA
	v_max_f32_e32 v178, v188, v178                             // 000000008928: 176565BC
	s_waitcnt lgkmcnt(0)                                       // 00000000892C: BF8CC07F
	v_max3_f32 v179, v189, v190, v179                          // 000000008930: D1D300B3 06CF7DBD
	v_max_f32_e32 v179, v191, v179                             // 000000008938: 176767BF
	ds_write_b128 v247, v[176:179]                             // 00000000893C: D9BE0000 0000B0F7
	s_waitcnt lgkmcnt(0)                                       // 000000008944: BF8CC07F
	s_barrier                                                  // 000000008948: BF8A0000
	ds_read_b128 v[180:183], v248                              // 00000000894C: D9FE0000 B40000F8
	ds_read_b128 v[184:187], v248 offset:256                   // 000000008954: D9FE0100 B80000F8
	ds_read_b128 v[188:191], v248 offset:512                   // 00000000895C: D9FE0200 BC0000F8
	ds_read_b128 v[192:195], v248 offset:768                   // 000000008964: D9FE0300 C00000F8
	v_pk_mul_f32 v[68:69], v[144:145], v[68:69]                // 00000000896C: D3B14044 18028990
	v_pk_mul_f32 v[70:71], v[144:145], v[70:71]                // 000000008974: D3B14046 18028D90
	v_pk_mul_f32 v[72:73], v[144:145], v[72:73]                // 00000000897C: D3B14048 18029190
	v_pk_mul_f32 v[74:75], v[144:145], v[74:75]                // 000000008984: D3B1404A 18029590
	v_pk_mul_f32 v[76:77], v[146:147], v[76:77]                // 00000000898C: D3B1404C 18029992
	v_pk_mul_f32 v[78:79], v[146:147], v[78:79]                // 000000008994: D3B1404E 18029D92
	v_pk_mul_f32 v[80:81], v[146:147], v[80:81]                // 00000000899C: D3B14050 1802A192
	v_pk_mul_f32 v[82:83], v[146:147], v[82:83]                // 0000000089A4: D3B14052 1802A592
	v_pk_mul_f32 v[84:85], v[148:149], v[84:85]                // 0000000089AC: D3B14054 1802A994
	v_pk_mul_f32 v[86:87], v[148:149], v[86:87]                // 0000000089B4: D3B14056 1802AD94
	v_pk_mul_f32 v[88:89], v[148:149], v[88:89]                // 0000000089BC: D3B14058 1802B194
	v_pk_mul_f32 v[90:91], v[148:149], v[90:91]                // 0000000089C4: D3B1405A 1802B594
	v_pk_mul_f32 v[92:93], v[150:151], v[92:93]                // 0000000089CC: D3B1405C 1802B996
	v_pk_mul_f32 v[94:95], v[150:151], v[94:95]                // 0000000089D4: D3B1405E 1802BD96
	v_pk_mul_f32 v[96:97], v[150:151], v[96:97]                // 0000000089DC: D3B14060 1802C196
	v_pk_mul_f32 v[98:99], v[150:151], v[98:99]                // 0000000089E4: D3B14062 1802C596
	s_waitcnt lgkmcnt(0)                                       // 0000000089EC: BF8CC07F
	v_max3_f32 v176, v180, v184, v176                          // 0000000089F0: D1D300B0 06C371B4
	v_max3_f32 v177, v181, v185, v177                          // 0000000089F8: D1D300B1 06C773B5
	v_max3_f32 v178, v182, v186, v178                          // 000000008A00: D1D300B2 06CB75B6
	v_max3_f32 v179, v183, v187, v179                          // 000000008A08: D1D300B3 06CF77B7
	v_max3_f32 v176, v188, v192, v176                          // 000000008A10: D1D300B0 06C381BC
	v_max3_f32 v177, v189, v193, v177                          // 000000008A18: D1D300B1 06C783BD
	v_max3_f32 v178, v190, v194, v178                          // 000000008A20: D1D300B2 06CB85BE
	v_max3_f32 v179, v191, v195, v179                          // 000000008A28: D1D300B3 06CF87BF
	v_max_f32_e32 v156, v176, v152                             // 000000008A30: 173931B0
	v_mul_f32_e64 v196, -s46, v156                             // 000000008A34: D10500C4 2003382E
	v_mov_b32_e32 v197, v196                                   // 000000008A3C: 7F8A03C4
	v_pk_fma_f32 v[4:5], v[4:5], s[46:47], v[196:197]          // 000000008A40: D3B04004 1F105D04
	v_pk_fma_f32 v[6:7], v[6:7], s[46:47], v[196:197]          // 000000008A48: D3B04006 1F105D06
	v_exp_f32_e32 v4, v4                                       // 000000008A50: 7E084104
	v_exp_f32_e32 v5, v5                                       // 000000008A54: 7E0A4105
	v_exp_f32_e32 v6, v6                                       // 000000008A58: 7E0C4106
	v_exp_f32_e32 v7, v7                                       // 000000008A5C: 7E0E4107
	v_pk_fma_f32 v[8:9], v[8:9], s[46:47], v[196:197]          // 000000008A60: D3B04008 1F105D08
	v_pk_fma_f32 v[10:11], v[10:11], s[46:47], v[196:197]      // 000000008A68: D3B0400A 1F105D0A
	v_exp_f32_e32 v8, v8                                       // 000000008A70: 7E104108
	v_exp_f32_e32 v9, v9                                       // 000000008A74: 7E124109
	v_exp_f32_e32 v10, v10                                     // 000000008A78: 7E14410A
	v_exp_f32_e32 v11, v11                                     // 000000008A7C: 7E16410B
	v_pk_fma_f32 v[12:13], v[12:13], s[46:47], v[196:197]      // 000000008A80: D3B0400C 1F105D0C
	v_pk_fma_f32 v[14:15], v[14:15], s[46:47], v[196:197]      // 000000008A88: D3B0400E 1F105D0E
	v_exp_f32_e32 v12, v12                                     // 000000008A90: 7E18410C
	v_exp_f32_e32 v13, v13                                     // 000000008A94: 7E1A410D
	v_exp_f32_e32 v14, v14                                     // 000000008A98: 7E1C410E
	v_exp_f32_e32 v15, v15                                     // 000000008A9C: 7E1E410F
	v_pk_fma_f32 v[16:17], v[16:17], s[46:47], v[196:197]      // 000000008AA0: D3B04010 1F105D10
	v_pk_fma_f32 v[18:19], v[18:19], s[46:47], v[196:197]      // 000000008AA8: D3B04012 1F105D12
	v_exp_f32_e32 v16, v16                                     // 000000008AB0: 7E204110
	v_exp_f32_e32 v17, v17                                     // 000000008AB4: 7E224111
	v_exp_f32_e32 v18, v18                                     // 000000008AB8: 7E244112
	v_exp_f32_e32 v19, v19                                     // 000000008ABC: 7E264113
	v_max_f32_e32 v157, v177, v153                             // 000000008AC0: 173B33B1
	v_mul_f32_e64 v196, -s46, v157                             // 000000008AC4: D10500C4 20033A2E
	v_mov_b32_e32 v197, v196                                   // 000000008ACC: 7F8A03C4
	v_pk_fma_f32 v[20:21], v[20:21], s[46:47], v[196:197]      // 000000008AD0: D3B04014 1F105D14
	v_pk_fma_f32 v[22:23], v[22:23], s[46:47], v[196:197]      // 000000008AD8: D3B04016 1F105D16
	v_exp_f32_e32 v20, v20                                     // 000000008AE0: 7E284114
	v_exp_f32_e32 v21, v21                                     // 000000008AE4: 7E2A4115
	v_exp_f32_e32 v22, v22                                     // 000000008AE8: 7E2C4116
	v_exp_f32_e32 v23, v23                                     // 000000008AEC: 7E2E4117
	v_pk_fma_f32 v[24:25], v[24:25], s[46:47], v[196:197]      // 000000008AF0: D3B04018 1F105D18
	v_pk_fma_f32 v[26:27], v[26:27], s[46:47], v[196:197]      // 000000008AF8: D3B0401A 1F105D1A
	v_exp_f32_e32 v24, v24                                     // 000000008B00: 7E304118
	v_exp_f32_e32 v25, v25                                     // 000000008B04: 7E324119
	v_exp_f32_e32 v26, v26                                     // 000000008B08: 7E34411A
	v_exp_f32_e32 v27, v27                                     // 000000008B0C: 7E36411B
	v_pk_fma_f32 v[28:29], v[28:29], s[46:47], v[196:197]      // 000000008B10: D3B0401C 1F105D1C
	v_pk_fma_f32 v[30:31], v[30:31], s[46:47], v[196:197]      // 000000008B18: D3B0401E 1F105D1E
	v_exp_f32_e32 v28, v28                                     // 000000008B20: 7E38411C
	v_exp_f32_e32 v29, v29                                     // 000000008B24: 7E3A411D
	v_exp_f32_e32 v30, v30                                     // 000000008B28: 7E3C411E
	v_exp_f32_e32 v31, v31                                     // 000000008B2C: 7E3E411F
	v_pk_fma_f32 v[32:33], v[32:33], s[46:47], v[196:197]      // 000000008B30: D3B04020 1F105D20
	v_pk_fma_f32 v[34:35], v[34:35], s[46:47], v[196:197]      // 000000008B38: D3B04022 1F105D22
	v_exp_f32_e32 v32, v32                                     // 000000008B40: 7E404120
	v_exp_f32_e32 v33, v33                                     // 000000008B44: 7E424121
	v_exp_f32_e32 v34, v34                                     // 000000008B48: 7E444122
	v_exp_f32_e32 v35, v35                                     // 000000008B4C: 7E464123
	v_max_f32_e32 v158, v178, v154                             // 000000008B50: 173D35B2
	v_mul_f32_e64 v196, -s46, v158                             // 000000008B54: D10500C4 20033C2E
	v_mov_b32_e32 v197, v196                                   // 000000008B5C: 7F8A03C4
	v_pk_fma_f32 v[36:37], v[36:37], s[46:47], v[196:197]      // 000000008B60: D3B04024 1F105D24
	v_pk_fma_f32 v[38:39], v[38:39], s[46:47], v[196:197]      // 000000008B68: D3B04026 1F105D26
	v_exp_f32_e32 v36, v36                                     // 000000008B70: 7E484124
	v_exp_f32_e32 v37, v37                                     // 000000008B74: 7E4A4125
	v_exp_f32_e32 v38, v38                                     // 000000008B78: 7E4C4126
	v_exp_f32_e32 v39, v39                                     // 000000008B7C: 7E4E4127
	v_pk_fma_f32 v[40:41], v[40:41], s[46:47], v[196:197]      // 000000008B80: D3B04028 1F105D28
	v_pk_fma_f32 v[42:43], v[42:43], s[46:47], v[196:197]      // 000000008B88: D3B0402A 1F105D2A
	v_exp_f32_e32 v40, v40                                     // 000000008B90: 7E504128
	v_exp_f32_e32 v41, v41                                     // 000000008B94: 7E524129
	v_exp_f32_e32 v42, v42                                     // 000000008B98: 7E54412A
	v_exp_f32_e32 v43, v43                                     // 000000008B9C: 7E56412B
	v_pk_fma_f32 v[44:45], v[44:45], s[46:47], v[196:197]      // 000000008BA0: D3B0402C 1F105D2C
	v_pk_fma_f32 v[46:47], v[46:47], s[46:47], v[196:197]      // 000000008BA8: D3B0402E 1F105D2E
	v_exp_f32_e32 v44, v44                                     // 000000008BB0: 7E58412C
	v_exp_f32_e32 v45, v45                                     // 000000008BB4: 7E5A412D
	v_exp_f32_e32 v46, v46                                     // 000000008BB8: 7E5C412E
	v_exp_f32_e32 v47, v47                                     // 000000008BBC: 7E5E412F
	v_pk_fma_f32 v[48:49], v[48:49], s[46:47], v[196:197]      // 000000008BC0: D3B04030 1F105D30
	v_pk_fma_f32 v[50:51], v[50:51], s[46:47], v[196:197]      // 000000008BC8: D3B04032 1F105D32
	v_exp_f32_e32 v48, v48                                     // 000000008BD0: 7E604130
	v_exp_f32_e32 v49, v49                                     // 000000008BD4: 7E624131
	v_exp_f32_e32 v50, v50                                     // 000000008BD8: 7E644132
	v_exp_f32_e32 v51, v51                                     // 000000008BDC: 7E664133
	v_max_f32_e32 v159, v179, v155                             // 000000008BE0: 173F37B3
	v_mul_f32_e64 v196, -s46, v159                             // 000000008BE4: D10500C4 20033E2E
	v_mov_b32_e32 v197, v196                                   // 000000008BEC: 7F8A03C4
	v_pk_fma_f32 v[52:53], v[52:53], s[46:47], v[196:197]      // 000000008BF0: D3B04034 1F105D34
	v_pk_fma_f32 v[54:55], v[54:55], s[46:47], v[196:197]      // 000000008BF8: D3B04036 1F105D36
	v_exp_f32_e32 v52, v52                                     // 000000008C00: 7E684134
	v_exp_f32_e32 v53, v53                                     // 000000008C04: 7E6A4135
	v_exp_f32_e32 v54, v54                                     // 000000008C08: 7E6C4136
	v_exp_f32_e32 v55, v55                                     // 000000008C0C: 7E6E4137
	v_pk_fma_f32 v[56:57], v[56:57], s[46:47], v[196:197]      // 000000008C10: D3B04038 1F105D38
	v_pk_fma_f32 v[58:59], v[58:59], s[46:47], v[196:197]      // 000000008C18: D3B0403A 1F105D3A
	v_exp_f32_e32 v56, v56                                     // 000000008C20: 7E704138
	v_exp_f32_e32 v57, v57                                     // 000000008C24: 7E724139
	v_exp_f32_e32 v58, v58                                     // 000000008C28: 7E74413A
	v_exp_f32_e32 v59, v59                                     // 000000008C2C: 7E76413B
	v_pk_fma_f32 v[60:61], v[60:61], s[46:47], v[196:197]      // 000000008C30: D3B0403C 1F105D3C
	v_pk_fma_f32 v[62:63], v[62:63], s[46:47], v[196:197]      // 000000008C38: D3B0403E 1F105D3E
	v_exp_f32_e32 v60, v60                                     // 000000008C40: 7E78413C
	v_exp_f32_e32 v61, v61                                     // 000000008C44: 7E7A413D
	v_exp_f32_e32 v62, v62                                     // 000000008C48: 7E7C413E
	v_exp_f32_e32 v63, v63                                     // 000000008C4C: 7E7E413F
	v_pk_fma_f32 v[64:65], v[64:65], s[46:47], v[196:197]      // 000000008C50: D3B04040 1F105D40
	v_pk_fma_f32 v[66:67], v[66:67], s[46:47], v[196:197]      // 000000008C58: D3B04042 1F105D42
	v_exp_f32_e32 v64, v64                                     // 000000008C60: 7E804140
	v_exp_f32_e32 v65, v65                                     // 000000008C64: 7E824141
	v_exp_f32_e32 v66, v66                                     // 000000008C68: 7E844142
	v_exp_f32_e32 v67, v67                                     // 000000008C6C: 7E864143
	v_sub_f32_e32 v160, v152, v156                             // 000000008C70: 05413998
	v_cmp_eq_u32_e64 s[98:99], v216, v152                      // 000000008C74: D0CA0062 000331D8
	v_cndmask_b32_e64 v160, v160, 0, s[98:99]                  // 000000008C7C: D10000A0 018901A0
	v_mov_b32_e32 v152, v156                                   // 000000008C84: 7F30039C
	v_mul_f32_e32 v160, s46, v160                              // 000000008C88: 0B41402E
	v_exp_f32_e32 v160, v160                                   // 000000008C8C: 7F4041A0
	v_sub_f32_e32 v162, v153, v157                             // 000000008C90: 05453B99
	v_cmp_eq_u32_e64 s[98:99], v216, v153                      // 000000008C94: D0CA0062 000333D8
	v_cndmask_b32_e64 v162, v162, 0, s[98:99]                  // 000000008C9C: D10000A2 018901A2
	v_mov_b32_e32 v153, v157                                   // 000000008CA4: 7F32039D
	v_mul_f32_e32 v162, s46, v162                              // 000000008CA8: 0B45442E
	v_exp_f32_e32 v162, v162                                   // 000000008CAC: 7F4441A2
	v_sub_f32_e32 v164, v154, v158                             // 000000008CB0: 05493D9A
	v_cmp_eq_u32_e64 s[98:99], v216, v154                      // 000000008CB4: D0CA0062 000335D8
	v_cndmask_b32_e64 v164, v164, 0, s[98:99]                  // 000000008CBC: D10000A4 018901A4
	v_mov_b32_e32 v154, v158                                   // 000000008CC4: 7F34039E
	v_mul_f32_e32 v164, s46, v164                              // 000000008CC8: 0B49482E
	v_exp_f32_e32 v164, v164                                   // 000000008CCC: 7F4841A4
	v_sub_f32_e32 v166, v155, v159                             // 000000008CD0: 054D3F9B
	v_cmp_eq_u32_e64 s[98:99], v216, v155                      // 000000008CD4: D0CA0062 000337D8
	v_cndmask_b32_e64 v166, v166, 0, s[98:99]                  // 000000008CDC: D10000A6 018901A6
	v_mov_b32_e32 v155, v159                                   // 000000008CE4: 7F36039F
	v_mul_f32_e32 v166, s46, v166                              // 000000008CE8: 0B4D4C2E
	v_exp_f32_e32 v166, v166                                   // 000000008CEC: 7F4C41A6
	v_mov_b32_e32 v161, v160                                   // 000000008CF0: 7F4203A0
	v_mov_b32_e32 v163, v162                                   // 000000008CF4: 7F4603A2
	v_mov_b32_e32 v165, v164                                   // 000000008CF8: 7F4A03A4
	v_mov_b32_e32 v167, v166                                   // 000000008CFC: 7F4E03A6
	v_mul_f32_e32 v168, v160, v168                             // 000000008D00: 0B5151A0
	v_mov_b32_e32 v169, 0                                      // 000000008D04: 7F520280
	v_pk_add_f32 v[168:169], v[4:5], v[168:169]                // 000000008D08: D3B240A8 18035104
	v_pk_add_f32 v[168:169], v[6:7], v[168:169]                // 000000008D10: D3B240A8 18035106
	v_pk_add_f32 v[168:169], v[8:9], v[168:169]                // 000000008D18: D3B240A8 18035108
	v_pk_add_f32 v[168:169], v[10:11], v[168:169]              // 000000008D20: D3B240A8 1803510A
	v_pk_add_f32 v[168:169], v[12:13], v[168:169]              // 000000008D28: D3B240A8 1803510C
	v_pk_add_f32 v[168:169], v[14:15], v[168:169]              // 000000008D30: D3B240A8 1803510E
	v_pk_add_f32 v[168:169], v[16:17], v[168:169]              // 000000008D38: D3B240A8 18035110
	v_pk_add_f32 v[168:169], v[18:19], v[168:169]              // 000000008D40: D3B240A8 18035112
	v_add_f32_e32 v168, v169, v168                             // 000000008D48: 035151A9
	v_mul_f32_e32 v170, v162, v170                             // 000000008D4C: 0B5555A2
	v_mov_b32_e32 v171, 0                                      // 000000008D50: 7F560280
	v_pk_add_f32 v[170:171], v[20:21], v[170:171]              // 000000008D54: D3B240AA 18035514
	v_pk_add_f32 v[170:171], v[22:23], v[170:171]              // 000000008D5C: D3B240AA 18035516
	v_pk_add_f32 v[170:171], v[24:25], v[170:171]              // 000000008D64: D3B240AA 18035518
	v_pk_add_f32 v[170:171], v[26:27], v[170:171]              // 000000008D6C: D3B240AA 1803551A
	v_pk_add_f32 v[170:171], v[28:29], v[170:171]              // 000000008D74: D3B240AA 1803551C
	v_pk_add_f32 v[170:171], v[30:31], v[170:171]              // 000000008D7C: D3B240AA 1803551E
	v_pk_add_f32 v[170:171], v[32:33], v[170:171]              // 000000008D84: D3B240AA 18035520
	v_pk_add_f32 v[170:171], v[34:35], v[170:171]              // 000000008D8C: D3B240AA 18035522
	v_add_f32_e32 v170, v171, v170                             // 000000008D94: 035555AB
	v_mul_f32_e32 v172, v164, v172                             // 000000008D98: 0B5959A4
	v_mov_b32_e32 v173, 0                                      // 000000008D9C: 7F5A0280
	v_pk_add_f32 v[172:173], v[36:37], v[172:173]              // 000000008DA0: D3B240AC 18035924
	v_pk_add_f32 v[172:173], v[38:39], v[172:173]              // 000000008DA8: D3B240AC 18035926
	v_pk_add_f32 v[172:173], v[40:41], v[172:173]              // 000000008DB0: D3B240AC 18035928
	v_pk_add_f32 v[172:173], v[42:43], v[172:173]              // 000000008DB8: D3B240AC 1803592A
	v_pk_add_f32 v[172:173], v[44:45], v[172:173]              // 000000008DC0: D3B240AC 1803592C
	v_pk_add_f32 v[172:173], v[46:47], v[172:173]              // 000000008DC8: D3B240AC 1803592E
	v_pk_add_f32 v[172:173], v[48:49], v[172:173]              // 000000008DD0: D3B240AC 18035930
	v_pk_add_f32 v[172:173], v[50:51], v[172:173]              // 000000008DD8: D3B240AC 18035932
	v_add_f32_e32 v172, v173, v172                             // 000000008DE0: 035959AD
	v_mul_f32_e32 v174, v166, v174                             // 000000008DE4: 0B5D5DA6
	v_mov_b32_e32 v175, 0                                      // 000000008DE8: 7F5E0280
	v_pk_add_f32 v[174:175], v[52:53], v[174:175]              // 000000008DEC: D3B240AE 18035D34
	v_pk_add_f32 v[174:175], v[54:55], v[174:175]              // 000000008DF4: D3B240AE 18035D36
	v_pk_add_f32 v[174:175], v[56:57], v[174:175]              // 000000008DFC: D3B240AE 18035D38
	v_pk_add_f32 v[174:175], v[58:59], v[174:175]              // 000000008E04: D3B240AE 18035D3A
	v_pk_add_f32 v[174:175], v[60:61], v[174:175]              // 000000008E0C: D3B240AE 18035D3C
	v_pk_add_f32 v[174:175], v[62:63], v[174:175]              // 000000008E14: D3B240AE 18035D3E
	v_pk_add_f32 v[174:175], v[64:65], v[174:175]              // 000000008E1C: D3B240AE 18035D40
	v_pk_add_f32 v[174:175], v[66:67], v[174:175]              // 000000008E24: D3B240AE 18035D42
	v_add_f32_e32 v174, v175, v174                             // 000000008E2C: 035D5DAF
	v_mul_f32_dpp v4, v143, v4 row_newbcast:0 row_mask:0xf bank_mask:0xf// 000000008E30: 0A0808FA FF01508F
	v_mul_f32_dpp v5, v143, v5 row_newbcast:1 row_mask:0xf bank_mask:0xf// 000000008E38: 0A0A0AFA FF01518F
	v_mul_f32_dpp v6, v143, v6 row_newbcast:2 row_mask:0xf bank_mask:0xf// 000000008E40: 0A0C0CFA FF01528F
	v_mul_f32_dpp v7, v143, v7 row_newbcast:3 row_mask:0xf bank_mask:0xf// 000000008E48: 0A0E0EFA FF01538F
	v_mul_f32_dpp v8, v143, v8 row_newbcast:4 row_mask:0xf bank_mask:0xf// 000000008E50: 0A1010FA FF01548F
	v_mul_f32_dpp v9, v143, v9 row_newbcast:5 row_mask:0xf bank_mask:0xf// 000000008E58: 0A1212FA FF01558F
	v_mul_f32_dpp v10, v143, v10 row_newbcast:6 row_mask:0xf bank_mask:0xf// 000000008E60: 0A1414FA FF01568F
	v_mul_f32_dpp v11, v143, v11 row_newbcast:7 row_mask:0xf bank_mask:0xf// 000000008E68: 0A1616FA FF01578F
	v_mul_f32_dpp v12, v143, v12 row_newbcast:8 row_mask:0xf bank_mask:0xf// 000000008E70: 0A1818FA FF01588F
	v_mul_f32_dpp v13, v143, v13 row_newbcast:9 row_mask:0xf bank_mask:0xf// 000000008E78: 0A1A1AFA FF01598F
	v_mul_f32_dpp v14, v143, v14 row_newbcast:10 row_mask:0xf bank_mask:0xf// 000000008E80: 0A1C1CFA FF015A8F
	v_mul_f32_dpp v15, v143, v15 row_newbcast:11 row_mask:0xf bank_mask:0xf// 000000008E88: 0A1E1EFA FF015B8F
	v_mul_f32_dpp v16, v143, v16 row_newbcast:12 row_mask:0xf bank_mask:0xf// 000000008E90: 0A2020FA FF015C8F
	v_mul_f32_dpp v17, v143, v17 row_newbcast:13 row_mask:0xf bank_mask:0xf// 000000008E98: 0A2222FA FF015D8F
	v_mul_f32_dpp v18, v143, v18 row_newbcast:14 row_mask:0xf bank_mask:0xf// 000000008EA0: 0A2424FA FF015E8F
	v_mul_f32_dpp v19, v143, v19 row_newbcast:15 row_mask:0xf bank_mask:0xf// 000000008EA8: 0A2626FA FF015F8F
	v_mul_f32_dpp v20, v143, v20 row_newbcast:0 row_mask:0xf bank_mask:0xf// 000000008EB0: 0A2828FA FF01508F
	v_mul_f32_dpp v21, v143, v21 row_newbcast:1 row_mask:0xf bank_mask:0xf// 000000008EB8: 0A2A2AFA FF01518F
	v_mul_f32_dpp v22, v143, v22 row_newbcast:2 row_mask:0xf bank_mask:0xf// 000000008EC0: 0A2C2CFA FF01528F
	v_mul_f32_dpp v23, v143, v23 row_newbcast:3 row_mask:0xf bank_mask:0xf// 000000008EC8: 0A2E2EFA FF01538F
	v_mul_f32_dpp v24, v143, v24 row_newbcast:4 row_mask:0xf bank_mask:0xf// 000000008ED0: 0A3030FA FF01548F
	v_mul_f32_dpp v25, v143, v25 row_newbcast:5 row_mask:0xf bank_mask:0xf// 000000008ED8: 0A3232FA FF01558F
	v_mul_f32_dpp v26, v143, v26 row_newbcast:6 row_mask:0xf bank_mask:0xf// 000000008EE0: 0A3434FA FF01568F
	v_mul_f32_dpp v27, v143, v27 row_newbcast:7 row_mask:0xf bank_mask:0xf// 000000008EE8: 0A3636FA FF01578F
	v_mul_f32_dpp v28, v143, v28 row_newbcast:8 row_mask:0xf bank_mask:0xf// 000000008EF0: 0A3838FA FF01588F
	v_mul_f32_dpp v29, v143, v29 row_newbcast:9 row_mask:0xf bank_mask:0xf// 000000008EF8: 0A3A3AFA FF01598F
	v_mul_f32_dpp v30, v143, v30 row_newbcast:10 row_mask:0xf bank_mask:0xf// 000000008F00: 0A3C3CFA FF015A8F
	v_mul_f32_dpp v31, v143, v31 row_newbcast:11 row_mask:0xf bank_mask:0xf// 000000008F08: 0A3E3EFA FF015B8F
	v_mul_f32_dpp v32, v143, v32 row_newbcast:12 row_mask:0xf bank_mask:0xf// 000000008F10: 0A4040FA FF015C8F
	v_mul_f32_dpp v33, v143, v33 row_newbcast:13 row_mask:0xf bank_mask:0xf// 000000008F18: 0A4242FA FF015D8F
	v_mul_f32_dpp v34, v143, v34 row_newbcast:14 row_mask:0xf bank_mask:0xf// 000000008F20: 0A4444FA FF015E8F
	v_mul_f32_dpp v35, v143, v35 row_newbcast:15 row_mask:0xf bank_mask:0xf// 000000008F28: 0A4646FA FF015F8F
	v_mul_f32_dpp v36, v143, v36 row_newbcast:0 row_mask:0xf bank_mask:0xf// 000000008F30: 0A4848FA FF01508F
	v_mul_f32_dpp v37, v143, v37 row_newbcast:1 row_mask:0xf bank_mask:0xf// 000000008F38: 0A4A4AFA FF01518F
	v_mul_f32_dpp v38, v143, v38 row_newbcast:2 row_mask:0xf bank_mask:0xf// 000000008F40: 0A4C4CFA FF01528F
	v_mul_f32_dpp v39, v143, v39 row_newbcast:3 row_mask:0xf bank_mask:0xf// 000000008F48: 0A4E4EFA FF01538F
	v_mul_f32_dpp v40, v143, v40 row_newbcast:4 row_mask:0xf bank_mask:0xf// 000000008F50: 0A5050FA FF01548F
	v_mul_f32_dpp v41, v143, v41 row_newbcast:5 row_mask:0xf bank_mask:0xf// 000000008F58: 0A5252FA FF01558F
	v_mul_f32_dpp v42, v143, v42 row_newbcast:6 row_mask:0xf bank_mask:0xf// 000000008F60: 0A5454FA FF01568F
	v_mul_f32_dpp v43, v143, v43 row_newbcast:7 row_mask:0xf bank_mask:0xf// 000000008F68: 0A5656FA FF01578F
	v_mul_f32_dpp v44, v143, v44 row_newbcast:8 row_mask:0xf bank_mask:0xf// 000000008F70: 0A5858FA FF01588F
	v_mul_f32_dpp v45, v143, v45 row_newbcast:9 row_mask:0xf bank_mask:0xf// 000000008F78: 0A5A5AFA FF01598F
	v_mul_f32_dpp v46, v143, v46 row_newbcast:10 row_mask:0xf bank_mask:0xf// 000000008F80: 0A5C5CFA FF015A8F
	v_mul_f32_dpp v47, v143, v47 row_newbcast:11 row_mask:0xf bank_mask:0xf// 000000008F88: 0A5E5EFA FF015B8F
	v_mul_f32_dpp v48, v143, v48 row_newbcast:12 row_mask:0xf bank_mask:0xf// 000000008F90: 0A6060FA FF015C8F
	v_mul_f32_dpp v49, v143, v49 row_newbcast:13 row_mask:0xf bank_mask:0xf// 000000008F98: 0A6262FA FF015D8F
	v_mul_f32_dpp v50, v143, v50 row_newbcast:14 row_mask:0xf bank_mask:0xf// 000000008FA0: 0A6464FA FF015E8F
	v_mul_f32_dpp v51, v143, v51 row_newbcast:15 row_mask:0xf bank_mask:0xf// 000000008FA8: 0A6666FA FF015F8F
	v_mul_f32_dpp v52, v143, v52 row_newbcast:0 row_mask:0xf bank_mask:0xf// 000000008FB0: 0A6868FA FF01508F
	v_mul_f32_dpp v53, v143, v53 row_newbcast:1 row_mask:0xf bank_mask:0xf// 000000008FB8: 0A6A6AFA FF01518F
	v_mul_f32_dpp v54, v143, v54 row_newbcast:2 row_mask:0xf bank_mask:0xf// 000000008FC0: 0A6C6CFA FF01528F
	v_mul_f32_dpp v55, v143, v55 row_newbcast:3 row_mask:0xf bank_mask:0xf// 000000008FC8: 0A6E6EFA FF01538F
	v_mul_f32_dpp v56, v143, v56 row_newbcast:4 row_mask:0xf bank_mask:0xf// 000000008FD0: 0A7070FA FF01548F
	v_mul_f32_dpp v57, v143, v57 row_newbcast:5 row_mask:0xf bank_mask:0xf// 000000008FD8: 0A7272FA FF01558F
	v_mul_f32_dpp v58, v143, v58 row_newbcast:6 row_mask:0xf bank_mask:0xf// 000000008FE0: 0A7474FA FF01568F
	v_mul_f32_dpp v59, v143, v59 row_newbcast:7 row_mask:0xf bank_mask:0xf// 000000008FE8: 0A7676FA FF01578F
	v_mul_f32_dpp v60, v143, v60 row_newbcast:8 row_mask:0xf bank_mask:0xf// 000000008FF0: 0A7878FA FF01588F
	v_mul_f32_dpp v61, v143, v61 row_newbcast:9 row_mask:0xf bank_mask:0xf// 000000008FF8: 0A7A7AFA FF01598F
	v_mul_f32_dpp v62, v143, v62 row_newbcast:10 row_mask:0xf bank_mask:0xf// 000000009000: 0A7C7CFA FF015A8F
	v_mul_f32_dpp v63, v143, v63 row_newbcast:11 row_mask:0xf bank_mask:0xf// 000000009008: 0A7E7EFA FF015B8F
	v_mul_f32_dpp v64, v143, v64 row_newbcast:12 row_mask:0xf bank_mask:0xf// 000000009010: 0A8080FA FF015C8F
	v_mul_f32_dpp v65, v143, v65 row_newbcast:13 row_mask:0xf bank_mask:0xf// 000000009018: 0A8282FA FF015D8F
	v_mul_f32_dpp v66, v143, v66 row_newbcast:14 row_mask:0xf bank_mask:0xf// 000000009020: 0A8484FA FF015E8F
	v_mul_f32_dpp v67, v143, v67 row_newbcast:15 row_mask:0xf bank_mask:0xf// 000000009028: 0A8686FA FF015F8F
	v_mov_b32_e32 v176, 0x358637bd                             // 000000009030: 7F6002FF 358637BD
	v_max3_f32 v176, |v4|, |v5|, v176                          // 000000009038: D1D303B0 06C20B04
	v_max3_f32 v176, |v6|, |v7|, v176                          // 000000009040: D1D303B0 06C20F06
	v_max3_f32 v176, |v8|, |v9|, v176                          // 000000009048: D1D303B0 06C21308
	v_max3_f32 v176, |v10|, |v11|, v176                        // 000000009050: D1D303B0 06C2170A
	v_max3_f32 v176, |v12|, |v13|, v176                        // 000000009058: D1D303B0 06C21B0C
	v_max3_f32 v176, |v14|, |v15|, v176                        // 000000009060: D1D303B0 06C21F0E
	v_max3_f32 v176, |v16|, |v17|, v176                        // 000000009068: D1D303B0 06C22310
	v_max3_f32 v176, |v18|, |v19|, v176                        // 000000009070: D1D303B0 06C22712
	v_mov_b32_e32 v177, 0x358637bd                             // 000000009078: 7F6202FF 358637BD
	v_max3_f32 v177, |v20|, |v21|, v177                        // 000000009080: D1D303B1 06C62B14
	v_max3_f32 v177, |v22|, |v23|, v177                        // 000000009088: D1D303B1 06C62F16
	v_max3_f32 v177, |v24|, |v25|, v177                        // 000000009090: D1D303B1 06C63318
	v_max3_f32 v177, |v26|, |v27|, v177                        // 000000009098: D1D303B1 06C6371A
	v_max3_f32 v177, |v28|, |v29|, v177                        // 0000000090A0: D1D303B1 06C63B1C
	v_max3_f32 v177, |v30|, |v31|, v177                        // 0000000090A8: D1D303B1 06C63F1E
	v_max3_f32 v177, |v32|, |v33|, v177                        // 0000000090B0: D1D303B1 06C64320
	v_max3_f32 v177, |v34|, |v35|, v177                        // 0000000090B8: D1D303B1 06C64722
	v_mov_b32_e32 v178, 0x358637bd                             // 0000000090C0: 7F6402FF 358637BD
	v_max3_f32 v178, |v36|, |v37|, v178                        // 0000000090C8: D1D303B2 06CA4B24
	v_max3_f32 v178, |v38|, |v39|, v178                        // 0000000090D0: D1D303B2 06CA4F26
	v_max3_f32 v178, |v40|, |v41|, v178                        // 0000000090D8: D1D303B2 06CA5328
	v_max3_f32 v178, |v42|, |v43|, v178                        // 0000000090E0: D1D303B2 06CA572A
	v_max3_f32 v178, |v44|, |v45|, v178                        // 0000000090E8: D1D303B2 06CA5B2C
	v_max3_f32 v178, |v46|, |v47|, v178                        // 0000000090F0: D1D303B2 06CA5F2E
	v_max3_f32 v178, |v48|, |v49|, v178                        // 0000000090F8: D1D303B2 06CA6330
	v_max3_f32 v178, |v50|, |v51|, v178                        // 000000009100: D1D303B2 06CA6732
	v_mov_b32_e32 v179, 0x358637bd                             // 000000009108: 7F6602FF 358637BD
	v_max3_f32 v179, |v52|, |v53|, v179                        // 000000009110: D1D303B3 06CE6B34
	v_max3_f32 v179, |v54|, |v55|, v179                        // 000000009118: D1D303B3 06CE6F36
	v_max3_f32 v179, |v56|, |v57|, v179                        // 000000009120: D1D303B3 06CE7338
	v_max3_f32 v179, |v58|, |v59|, v179                        // 000000009128: D1D303B3 06CE773A
	v_max3_f32 v179, |v60|, |v61|, v179                        // 000000009130: D1D303B3 06CE7B3C
	v_max3_f32 v179, |v62|, |v63|, v179                        // 000000009138: D1D303B3 06CE7F3E
	v_max3_f32 v179, |v64|, |v65|, v179                        // 000000009140: D1D303B3 06CE8340
	v_max3_f32 v179, |v66|, |v67|, v179                        // 000000009148: D1D303B3 06CE8742
	ds_bpermute_b32 v180, v200, v176                           // 000000009150: D87E0000 B400B0C8
	ds_bpermute_b32 v181, v201, v176                           // 000000009158: D87E0000 B500B0C9
	ds_bpermute_b32 v182, v202, v176                           // 000000009160: D87E0000 B600B0CA
	ds_bpermute_b32 v183, v200, v177                           // 000000009168: D87E0000 B700B1C8
	ds_bpermute_b32 v184, v201, v177                           // 000000009170: D87E0000 B800B1C9
	ds_bpermute_b32 v185, v202, v177                           // 000000009178: D87E0000 B900B1CA
	ds_bpermute_b32 v186, v200, v178                           // 000000009180: D87E0000 BA00B2C8
	ds_bpermute_b32 v187, v201, v178                           // 000000009188: D87E0000 BB00B2C9
	ds_bpermute_b32 v188, v202, v178                           // 000000009190: D87E0000 BC00B2CA
	ds_bpermute_b32 v189, v200, v179                           // 000000009198: D87E0000 BD00B3C8
	ds_bpermute_b32 v190, v201, v179                           // 0000000091A0: D87E0000 BE00B3C9
	ds_bpermute_b32 v191, v202, v179                           // 0000000091A8: D87E0000 BF00B3CA
	s_waitcnt lgkmcnt(9)                                       // 0000000091B0: BF8CC97F
	v_max3_f32 v176, v180, v181, v176                          // 0000000091B4: D1D300B0 06C36BB4
	v_max_f32_e32 v176, v182, v176                             // 0000000091BC: 176161B6
	s_waitcnt lgkmcnt(6)                                       // 0000000091C0: BF8CC67F
	v_max3_f32 v177, v183, v184, v177                          // 0000000091C4: D1D300B1 06C771B7
	v_max_f32_e32 v177, v185, v177                             // 0000000091CC: 176363B9
	s_waitcnt lgkmcnt(3)                                       // 0000000091D0: BF8CC37F
	v_max3_f32 v178, v186, v187, v178                          // 0000000091D4: D1D300B2 06CB77BA
	v_max_f32_e32 v178, v188, v178                             // 0000000091DC: 176565BC
	s_waitcnt lgkmcnt(0)                                       // 0000000091E0: BF8CC07F
	v_max3_f32 v179, v189, v190, v179                          // 0000000091E4: D1D300B3 06CF7DBD
	v_max_f32_e32 v179, v191, v179                             // 0000000091EC: 176767BF
	ds_write_b128 v247, v[176:179] offset:4096                 // 0000000091F0: D9BE1000 0000B0F7
	buffer_load_dword v140, v231, s[20:23], 0 offen            // 0000000091F8: E0501000 80058CE7
	s_waitcnt lgkmcnt(0)                                       // 000000009200: BF8CC07F
	s_barrier                                                  // 000000009204: BF8A0000
	buffer_load_dword v142, v232, s[24:27], 0 offen            // 000000009208: E0501000 80068EE8
	ds_read_b128 v[180:183], v248 offset:4096                  // 000000009210: D9FE1000 B40000F8
	ds_read_b128 v[184:187], v248 offset:4352                  // 000000009218: D9FE1100 B80000F8
	ds_read_b128 v[188:191], v248 offset:4608                  // 000000009220: D9FE1200 BC0000F8
	ds_read_b128 v[192:195], v248 offset:4864                  // 000000009228: D9FE1300 C00000F8
	s_waitcnt lgkmcnt(0)                                       // 000000009230: BF8CC07F
	v_max3_f32 v176, v180, v184, v176                          // 000000009234: D1D300B0 06C371B4
	v_max3_f32 v177, v181, v185, v177                          // 00000000923C: D1D300B1 06C773B5
	v_max3_f32 v178, v182, v186, v178                          // 000000009244: D1D300B2 06CB75B6
	v_max3_f32 v179, v183, v187, v179                          // 00000000924C: D1D300B3 06CF77B7
	v_max3_f32 v176, v188, v192, v176                          // 000000009254: D1D300B0 06C381BC
	v_max3_f32 v177, v189, v193, v177                          // 00000000925C: D1D300B1 06C783BD
	v_max3_f32 v178, v190, v194, v178                          // 000000009264: D1D300B2 06CB85BE
	v_max3_f32 v179, v191, v195, v179                          // 00000000926C: D1D300B3 06CF87BF
	v_rcp_f32_e32 v176, v176                                   // 000000009274: 7F6045B0
	v_rcp_f32_e32 v177, v177                                   // 000000009278: 7F6245B1
	v_rcp_f32_e32 v178, v178                                   // 00000000927C: 7F6445B2
	v_rcp_f32_e32 v179, v179                                   // 000000009280: 7F6645B3
	v_mul_f32_e32 v176, 0x43700000, v176                       // 000000009284: 0B6160FF 43700000
	v_mul_f32_e32 v177, 0x43700000, v177                       // 00000000928C: 0B6362FF 43700000
	v_mul_f32_e32 v178, 0x43700000, v178                       // 000000009294: 0B6564FF 43700000
	v_mul_f32_e32 v179, 0x43700000, v179                       // 00000000929C: 0B6766FF 43700000
	v_mul_f32_e32 v4, v176, v4                                 // 0000000092A4: 0A0809B0
	v_mul_f32_e32 v5, v176, v5                                 // 0000000092A8: 0A0A0BB0
	v_mul_f32_e32 v6, v176, v6                                 // 0000000092AC: 0A0C0DB0
	v_mul_f32_e32 v7, v176, v7                                 // 0000000092B0: 0A0E0FB0
	v_mul_f32_e32 v8, v176, v8                                 // 0000000092B4: 0A1011B0
	v_mul_f32_e32 v9, v176, v9                                 // 0000000092B8: 0A1213B0
	v_mul_f32_e32 v10, v176, v10                               // 0000000092BC: 0A1415B0
	v_mul_f32_e32 v11, v176, v11                               // 0000000092C0: 0A1617B0
	v_mul_f32_e32 v12, v176, v12                               // 0000000092C4: 0A1819B0
	v_mul_f32_e32 v13, v176, v13                               // 0000000092C8: 0A1A1BB0
	v_mul_f32_e32 v14, v176, v14                               // 0000000092CC: 0A1C1DB0
	v_mul_f32_e32 v15, v176, v15                               // 0000000092D0: 0A1E1FB0
	v_mul_f32_e32 v16, v176, v16                               // 0000000092D4: 0A2021B0
	v_mul_f32_e32 v17, v176, v17                               // 0000000092D8: 0A2223B0
	v_mul_f32_e32 v18, v176, v18                               // 0000000092DC: 0A2425B0
	v_mul_f32_e32 v19, v176, v19                               // 0000000092E0: 0A2627B0
	v_mul_f32_e32 v20, v177, v20                               // 0000000092E4: 0A2829B1
	v_mul_f32_e32 v21, v177, v21                               // 0000000092E8: 0A2A2BB1
	v_mul_f32_e32 v22, v177, v22                               // 0000000092EC: 0A2C2DB1
	v_mul_f32_e32 v23, v177, v23                               // 0000000092F0: 0A2E2FB1
	v_mul_f32_e32 v24, v177, v24                               // 0000000092F4: 0A3031B1
	v_mul_f32_e32 v25, v177, v25                               // 0000000092F8: 0A3233B1
	v_mul_f32_e32 v26, v177, v26                               // 0000000092FC: 0A3435B1
	v_mul_f32_e32 v27, v177, v27                               // 000000009300: 0A3637B1
	v_mul_f32_e32 v28, v177, v28                               // 000000009304: 0A3839B1
	v_mul_f32_e32 v29, v177, v29                               // 000000009308: 0A3A3BB1
	v_mul_f32_e32 v30, v177, v30                               // 00000000930C: 0A3C3DB1
	v_mul_f32_e32 v31, v177, v31                               // 000000009310: 0A3E3FB1
	v_mul_f32_e32 v32, v177, v32                               // 000000009314: 0A4041B1
	v_mul_f32_e32 v33, v177, v33                               // 000000009318: 0A4243B1
	v_mul_f32_e32 v34, v177, v34                               // 00000000931C: 0A4445B1
	v_mul_f32_e32 v35, v177, v35                               // 000000009320: 0A4647B1
	v_mul_f32_e32 v36, v178, v36                               // 000000009324: 0A4849B2
	v_mul_f32_e32 v37, v178, v37                               // 000000009328: 0A4A4BB2
	v_mul_f32_e32 v38, v178, v38                               // 00000000932C: 0A4C4DB2
	v_mul_f32_e32 v39, v178, v39                               // 000000009330: 0A4E4FB2
	v_mul_f32_e32 v40, v178, v40                               // 000000009334: 0A5051B2
	v_mul_f32_e32 v41, v178, v41                               // 000000009338: 0A5253B2
	v_mul_f32_e32 v42, v178, v42                               // 00000000933C: 0A5455B2
	v_mul_f32_e32 v43, v178, v43                               // 000000009340: 0A5657B2
	v_mul_f32_e32 v44, v178, v44                               // 000000009344: 0A5859B2
	v_mul_f32_e32 v45, v178, v45                               // 000000009348: 0A5A5BB2
	v_mul_f32_e32 v46, v178, v46                               // 00000000934C: 0A5C5DB2
	v_mul_f32_e32 v47, v178, v47                               // 000000009350: 0A5E5FB2
	v_mul_f32_e32 v48, v178, v48                               // 000000009354: 0A6061B2
	v_mul_f32_e32 v49, v178, v49                               // 000000009358: 0A6263B2
	v_mul_f32_e32 v50, v178, v50                               // 00000000935C: 0A6465B2
	v_mul_f32_e32 v51, v178, v51                               // 000000009360: 0A6667B2
	v_mul_f32_e32 v52, v179, v52                               // 000000009364: 0A6869B3
	v_mul_f32_e32 v53, v179, v53                               // 000000009368: 0A6A6BB3
	v_mul_f32_e32 v54, v179, v54                               // 00000000936C: 0A6C6DB3
	v_mul_f32_e32 v55, v179, v55                               // 000000009370: 0A6E6FB3
	v_mul_f32_e32 v56, v179, v56                               // 000000009374: 0A7071B3
	v_mul_f32_e32 v57, v179, v57                               // 000000009378: 0A7273B3
	v_mul_f32_e32 v58, v179, v58                               // 00000000937C: 0A7475B3
	v_mul_f32_e32 v59, v179, v59                               // 000000009380: 0A7677B3
	v_mul_f32_e32 v60, v179, v60                               // 000000009384: 0A7879B3
	v_mul_f32_e32 v61, v179, v61                               // 000000009388: 0A7A7BB3
	v_mul_f32_e32 v62, v179, v62                               // 00000000938C: 0A7C7DB3
	v_mul_f32_e32 v63, v179, v63                               // 000000009390: 0A7E7FB3
	v_mul_f32_e32 v64, v179, v64                               // 000000009394: 0A8081B3
	v_mul_f32_e32 v65, v179, v65                               // 000000009398: 0A8283B3
	v_mul_f32_e32 v66, v179, v66                               // 00000000939C: 0A8485B3
	v_mul_f32_e32 v67, v179, v67                               // 0000000093A0: 0A8687B3
	v_cvt_pk_fp8_f32 v4, v4, v5                                // 0000000093A4: D2A20004 00020B04
	v_cvt_pk_fp8_f32 v4, v6, v7 op_sel:[0,0,1]                 // 0000000093AC: D2A24004 00020F06
	v_cvt_pk_fp8_f32 v5, v8, v9                                // 0000000093B4: D2A20005 00021308
	v_cvt_pk_fp8_f32 v5, v10, v11 op_sel:[0,0,1]               // 0000000093BC: D2A24005 0002170A
	v_cvt_pk_fp8_f32 v6, v12, v13                              // 0000000093C4: D2A20006 00021B0C
	v_cvt_pk_fp8_f32 v6, v14, v15 op_sel:[0,0,1]               // 0000000093CC: D2A24006 00021F0E
	v_cvt_pk_fp8_f32 v7, v16, v17                              // 0000000093D4: D2A20007 00022310
	v_cvt_pk_fp8_f32 v7, v18, v19 op_sel:[0,0,1]               // 0000000093DC: D2A24007 00022712
	v_cvt_pk_fp8_f32 v8, v20, v21                              // 0000000093E4: D2A20008 00022B14
	v_cvt_pk_fp8_f32 v8, v22, v23 op_sel:[0,0,1]               // 0000000093EC: D2A24008 00022F16
	v_cvt_pk_fp8_f32 v9, v24, v25                              // 0000000093F4: D2A20009 00023318
	v_cvt_pk_fp8_f32 v9, v26, v27 op_sel:[0,0,1]               // 0000000093FC: D2A24009 0002371A
	v_cvt_pk_fp8_f32 v10, v28, v29                             // 000000009404: D2A2000A 00023B1C
	v_cvt_pk_fp8_f32 v10, v30, v31 op_sel:[0,0,1]              // 00000000940C: D2A2400A 00023F1E
	v_cvt_pk_fp8_f32 v11, v32, v33                             // 000000009414: D2A2000B 00024320
	v_cvt_pk_fp8_f32 v11, v34, v35 op_sel:[0,0,1]              // 00000000941C: D2A2400B 00024722
	v_cvt_pk_fp8_f32 v12, v36, v37                             // 000000009424: D2A2000C 00024B24
	v_cvt_pk_fp8_f32 v12, v38, v39 op_sel:[0,0,1]              // 00000000942C: D2A2400C 00024F26
	v_cvt_pk_fp8_f32 v13, v40, v41                             // 000000009434: D2A2000D 00025328
	v_cvt_pk_fp8_f32 v13, v42, v43 op_sel:[0,0,1]              // 00000000943C: D2A2400D 0002572A
	v_cvt_pk_fp8_f32 v14, v44, v45                             // 000000009444: D2A2000E 00025B2C
	v_cvt_pk_fp8_f32 v14, v46, v47 op_sel:[0,0,1]              // 00000000944C: D2A2400E 00025F2E
	v_cvt_pk_fp8_f32 v15, v48, v49                             // 000000009454: D2A2000F 00026330
	v_cvt_pk_fp8_f32 v15, v50, v51 op_sel:[0,0,1]              // 00000000945C: D2A2400F 00026732
	v_cvt_pk_fp8_f32 v16, v52, v53                             // 000000009464: D2A20010 00026B34
	v_cvt_pk_fp8_f32 v16, v54, v55 op_sel:[0,0,1]              // 00000000946C: D2A24010 00026F36
	v_cvt_pk_fp8_f32 v17, v56, v57                             // 000000009474: D2A20011 00027338
	v_cvt_pk_fp8_f32 v17, v58, v59 op_sel:[0,0,1]              // 00000000947C: D2A24011 0002773A
	v_cvt_pk_fp8_f32 v18, v60, v61                             // 000000009484: D2A20012 00027B3C
	v_cvt_pk_fp8_f32 v18, v62, v63 op_sel:[0,0,1]              // 00000000948C: D2A24012 00027F3E
	v_cvt_pk_fp8_f32 v19, v64, v65                             // 000000009494: D2A20013 00028340
	v_cvt_pk_fp8_f32 v19, v66, v67 op_sel:[0,0,1]              // 00000000949C: D2A24013 00028742
	ds_write_b32 v249, v4 offset:8192                          // 0000000094A4: D81A2000 000004F9
	ds_write_b32 v249, v5 offset:9216                          // 0000000094AC: D81A2400 000005F9
	ds_write_b32 v249, v6 offset:10240                         // 0000000094B4: D81A2800 000006F9
	ds_write_b32 v249, v7 offset:11264                         // 0000000094BC: D81A2C00 000007F9
	ds_write_b32 v249, v8 offset:12288                         // 0000000094C4: D81A3000 000008F9
	ds_write_b32 v249, v9 offset:13312                         // 0000000094CC: D81A3400 000009F9
	ds_write_b32 v249, v10 offset:14336                        // 0000000094D4: D81A3800 00000AF9
	ds_write_b32 v249, v11 offset:15360                        // 0000000094DC: D81A3C00 00000BF9
	ds_write_b32 v249, v12 offset:16384                        // 0000000094E4: D81A4000 00000CF9
	ds_write_b32 v249, v13 offset:17408                        // 0000000094EC: D81A4400 00000DF9
	ds_write_b32 v249, v14 offset:18432                        // 0000000094F4: D81A4800 00000EF9
	ds_write_b32 v249, v15 offset:19456                        // 0000000094FC: D81A4C00 00000FF9
	ds_write_b32 v249, v16 offset:20480                        // 000000009504: D81A5000 000010F9
	ds_write_b32 v249, v17 offset:21504                        // 00000000950C: D81A5400 000011F9
	ds_write_b32 v249, v18 offset:22528                        // 000000009514: D81A5800 000012F9
	ds_write_b32 v249, v19 offset:23552                        // 00000000951C: D81A5C00 000013F9
	v_rcp_f32_e32 v144, v176                                   // 000000009524: 7F2045B0
	v_rcp_f32_e32 v146, v177                                   // 000000009528: 7F2445B1
	v_rcp_f32_e32 v148, v178                                   // 00000000952C: 7F2845B2
	v_rcp_f32_e32 v150, v179                                   // 000000009530: 7F2C45B3
	v_mov_b32_e32 v145, v144                                   // 000000009534: 7F220390
	v_mov_b32_e32 v147, v146                                   // 000000009538: 7F260392
	v_mov_b32_e32 v149, v148                                   // 00000000953C: 7F2A0394
	v_mov_b32_e32 v151, v150                                   // 000000009540: 7F2E0396
	v_pk_add_f32 v[100:101], v[100:101], v[68:69]              // 000000009544: D3B24064 18028964
	v_pk_add_f32 v[102:103], v[102:103], v[70:71]              // 00000000954C: D3B24066 18028D66
	v_pk_add_f32 v[104:105], v[104:105], v[72:73]              // 000000009554: D3B24068 18029168
	v_pk_add_f32 v[106:107], v[106:107], v[74:75]              // 00000000955C: D3B2406A 1802956A
	v_pk_add_f32 v[108:109], v[108:109], v[76:77]              // 000000009564: D3B2406C 1802996C
	v_pk_add_f32 v[110:111], v[110:111], v[78:79]              // 00000000956C: D3B2406E 18029D6E
	v_pk_add_f32 v[112:113], v[112:113], v[80:81]              // 000000009574: D3B24070 1802A170
	v_pk_add_f32 v[114:115], v[114:115], v[82:83]              // 00000000957C: D3B24072 1802A572
	v_pk_add_f32 v[116:117], v[116:117], v[84:85]              // 000000009584: D3B24074 1802A974
	v_pk_add_f32 v[118:119], v[118:119], v[86:87]              // 00000000958C: D3B24076 1802AD76
	v_pk_add_f32 v[120:121], v[120:121], v[88:89]              // 000000009594: D3B24078 1802B178
	v_pk_add_f32 v[122:123], v[122:123], v[90:91]              // 00000000959C: D3B2407A 1802B57A
	v_pk_add_f32 v[124:125], v[124:125], v[92:93]              // 0000000095A4: D3B2407C 1802B97C
	v_pk_add_f32 v[126:127], v[126:127], v[94:95]              // 0000000095AC: D3B2407E 1802BD7E
	v_pk_add_f32 v[128:129], v[128:129], v[96:97]              // 0000000095B4: D3B24080 1802C180
	v_pk_add_f32 v[130:131], v[130:131], v[98:99]              // 0000000095BC: D3B24082 1802C582
	s_waitcnt lgkmcnt(0)                                       // 0000000095C4: BF8CC07F
	s_barrier                                                  // 0000000095C8: BF8A0000
	ds_read_b128 v[4:7], v250 offset:8192                      // 0000000095CC: D9FE2000 040000FA
	ds_read_b128 v[8:11], v250 offset:9216                     // 0000000095D4: D9FE2400 080000FA
	ds_read_b128 v[12:15], v250 offset:10240                   // 0000000095DC: D9FE2800 0C0000FA
	ds_read_b128 v[16:19], v250 offset:11264                   // 0000000095E4: D9FE2C00 100000FA
	ds_read_b128 v[20:23], v250 offset:12288                   // 0000000095EC: D9FE3000 140000FA
	ds_read_b128 v[24:27], v250 offset:13312                   // 0000000095F4: D9FE3400 180000FA
	ds_read_b128 v[28:31], v250 offset:14336                   // 0000000095FC: D9FE3800 1C0000FA
	ds_read_b128 v[32:35], v250 offset:15360                   // 000000009604: D9FE3C00 200000FA
	ds_read_b128 v[36:39], v250 offset:16384                   // 00000000960C: D9FE4000 240000FA
	ds_read_b128 v[40:43], v250 offset:17408                   // 000000009614: D9FE4400 280000FA
	ds_read_b128 v[44:47], v250 offset:18432                   // 00000000961C: D9FE4800 2C0000FA
	ds_read_b128 v[48:51], v250 offset:19456                   // 000000009624: D9FE4C00 300000FA
	ds_read_b128 v[52:55], v250 offset:20480                   // 00000000962C: D9FE5000 340000FA
	ds_read_b128 v[56:59], v250 offset:21504                   // 000000009634: D9FE5400 380000FA
	ds_read_b128 v[60:63], v250 offset:22528                   // 00000000963C: D9FE5800 3C0000FA
	ds_read_b128 v[64:67], v250 offset:23552                   // 000000009644: D9FE5C00 400000FA
	s_waitcnt vmcnt(10)                                        // 00000000964C: BF8C0F7A
	s_waitcnt vmcnt(63) expcnt(7) lgkmcnt(15)                  // 000000009650: BF8CCF7F
	v_mfma_f32_16x16x32_fp8_fp8 v[68:71], a[128:129], v[4:5], 0// 000000009654: D3F30044 0A020980
	v_mfma_f32_16x16x32_fp8_fp8 v[72:75], a[144:145], v[4:5], 0// 00000000965C: D3F30048 0A020990
	v_mfma_f32_16x16x32_fp8_fp8 v[68:71], a[130:131], v[6:7], v[68:71]// 000000009664: D3F30044 0D120D82
	buffer_load_dwordx4 a[96:99], v227, s[16:19], 0 offen      // 00000000966C: E05C1000 808460E3
	v_mfma_f32_16x16x32_fp8_fp8 v[72:75], a[146:147], v[6:7], v[72:75]// 000000009674: D3F30048 0D220D92
	s_waitcnt lgkmcnt(14)                                      // 00000000967C: BF8CCE7F
	v_mfma_f32_16x16x32_fp8_fp8 v[68:71], a[132:133], v[8:9], v[68:71]// 000000009680: D3F30044 0D121184
	v_mfma_f32_16x16x32_fp8_fp8 v[72:75], a[148:149], v[8:9], v[72:75]// 000000009688: D3F30048 0D221194
	v_mfma_f32_16x16x32_fp8_fp8 v[68:71], a[134:135], v[10:11], v[68:71]// 000000009690: D3F30044 0D121586
	buffer_load_dwordx4 a[100:103], v228, s[16:19], 0 offen    // 000000009698: E05C1000 808464E4
	v_mfma_f32_16x16x32_fp8_fp8 v[72:75], a[150:151], v[10:11], v[72:75]// 0000000096A0: D3F30048 0D221596
	s_waitcnt lgkmcnt(13)                                      // 0000000096A8: BF8CCD7F
	v_mfma_f32_16x16x32_fp8_fp8 v[68:71], a[136:137], v[12:13], v[68:71]// 0000000096AC: D3F30044 0D121988
	v_mfma_f32_16x16x32_fp8_fp8 v[72:75], a[152:153], v[12:13], v[72:75]// 0000000096B4: D3F30048 0D221998
	v_mfma_f32_16x16x32_fp8_fp8 v[68:71], a[138:139], v[14:15], v[68:71]// 0000000096BC: D3F30044 0D121D8A
	buffer_load_dwordx4 a[104:107], v229, s[16:19], 0 offen    // 0000000096C4: E05C1000 808468E5
	v_mfma_f32_16x16x32_fp8_fp8 v[72:75], a[154:155], v[14:15], v[72:75]// 0000000096CC: D3F30048 0D221D9A
	s_waitcnt lgkmcnt(12)                                      // 0000000096D4: BF8CCC7F
	v_mfma_f32_16x16x32_fp8_fp8 v[68:71], a[140:141], v[16:17], v[68:71]// 0000000096D8: D3F30044 0D12218C
	v_mfma_f32_16x16x32_fp8_fp8 v[72:75], a[156:157], v[16:17], v[72:75]// 0000000096E0: D3F30048 0D22219C
	v_mfma_f32_16x16x32_fp8_fp8 v[68:71], a[142:143], v[18:19], v[68:71]// 0000000096E8: D3F30044 0D12258E
	buffer_load_dwordx4 a[108:111], v230, s[16:19], 0 offen    // 0000000096F0: E05C1000 80846CE6
	v_mfma_f32_16x16x32_fp8_fp8 v[72:75], a[158:159], v[18:19], v[72:75]// 0000000096F8: D3F30048 0D22259E
	s_waitcnt lgkmcnt(11)                                      // 000000009700: BF8CCB7F
	v_mfma_f32_16x16x32_fp8_fp8 v[76:79], a[128:129], v[20:21], 0// 000000009704: D3F3004C 0A022980
	v_mfma_f32_16x16x32_fp8_fp8 v[80:83], a[144:145], v[20:21], 0// 00000000970C: D3F30050 0A022990
	v_mfma_f32_16x16x32_fp8_fp8 v[76:79], a[130:131], v[22:23], v[76:79]// 000000009714: D3F3004C 0D322D82
	buffer_load_dwordx4 a[112:115], v227, s[16:19], 0 offen offset:1024// 00000000971C: E05C1400 808470E3
	v_mfma_f32_16x16x32_fp8_fp8 v[80:83], a[146:147], v[22:23], v[80:83]// 000000009724: D3F30050 0D422D92
	s_waitcnt lgkmcnt(10)                                      // 00000000972C: BF8CCA7F
	v_mfma_f32_16x16x32_fp8_fp8 v[76:79], a[132:133], v[24:25], v[76:79]// 000000009730: D3F3004C 0D323184
	v_mfma_f32_16x16x32_fp8_fp8 v[80:83], a[148:149], v[24:25], v[80:83]// 000000009738: D3F30050 0D423194
	v_mfma_f32_16x16x32_fp8_fp8 v[76:79], a[134:135], v[26:27], v[76:79]// 000000009740: D3F3004C 0D323586
	buffer_load_dwordx4 a[116:119], v228, s[16:19], 0 offen offset:1024// 000000009748: E05C1400 808474E4
	v_mfma_f32_16x16x32_fp8_fp8 v[80:83], a[150:151], v[26:27], v[80:83]// 000000009750: D3F30050 0D423596
	s_waitcnt lgkmcnt(9)                                       // 000000009758: BF8CC97F
	v_mfma_f32_16x16x32_fp8_fp8 v[76:79], a[136:137], v[28:29], v[76:79]// 00000000975C: D3F3004C 0D323988
	v_mfma_f32_16x16x32_fp8_fp8 v[80:83], a[152:153], v[28:29], v[80:83]// 000000009764: D3F30050 0D423998
	v_mfma_f32_16x16x32_fp8_fp8 v[76:79], a[138:139], v[30:31], v[76:79]// 00000000976C: D3F3004C 0D323D8A
	buffer_load_dwordx4 a[120:123], v229, s[16:19], 0 offen offset:1024// 000000009774: E05C1400 808478E5
	v_mfma_f32_16x16x32_fp8_fp8 v[80:83], a[154:155], v[30:31], v[80:83]// 00000000977C: D3F30050 0D423D9A
	s_waitcnt lgkmcnt(8)                                       // 000000009784: BF8CC87F
	v_mfma_f32_16x16x32_fp8_fp8 v[76:79], a[140:141], v[32:33], v[76:79]// 000000009788: D3F3004C 0D32418C
	v_mfma_f32_16x16x32_fp8_fp8 v[80:83], a[156:157], v[32:33], v[80:83]// 000000009790: D3F30050 0D42419C
	v_mfma_f32_16x16x32_fp8_fp8 v[76:79], a[142:143], v[34:35], v[76:79]// 000000009798: D3F3004C 0D32458E
	buffer_load_dwordx4 a[124:127], v230, s[16:19], 0 offen offset:1024// 0000000097A0: E05C1400 80847CE6
	v_mfma_f32_16x16x32_fp8_fp8 v[80:83], a[158:159], v[34:35], v[80:83]// 0000000097A8: D3F30050 0D42459E
	s_waitcnt lgkmcnt(7)                                       // 0000000097B0: BF8CC77F
	v_mfma_f32_16x16x32_fp8_fp8 v[84:87], a[128:129], v[36:37], 0// 0000000097B4: D3F30054 0A024980
	v_mfma_f32_16x16x32_fp8_fp8 v[88:91], a[144:145], v[36:37], 0// 0000000097BC: D3F30058 0A024990
	v_mfma_f32_16x16x32_fp8_fp8 v[84:87], a[130:131], v[38:39], v[84:87]// 0000000097C4: D3F30054 0D524D82
	v_mfma_f32_16x16x32_fp8_fp8 v[88:91], a[146:147], v[38:39], v[88:91]// 0000000097CC: D3F30058 0D624D92
	s_waitcnt lgkmcnt(6)                                       // 0000000097D4: BF8CC67F
	v_mfma_f32_16x16x32_fp8_fp8 v[84:87], a[132:133], v[40:41], v[84:87]// 0000000097D8: D3F30054 0D525184
	v_mfma_f32_16x16x32_fp8_fp8 v[88:91], a[148:149], v[40:41], v[88:91]// 0000000097E0: D3F30058 0D625194
	v_mfma_f32_16x16x32_fp8_fp8 v[84:87], a[134:135], v[42:43], v[84:87]// 0000000097E8: D3F30054 0D525586
	v_mfma_f32_16x16x32_fp8_fp8 v[88:91], a[150:151], v[42:43], v[88:91]// 0000000097F0: D3F30058 0D625596
	s_waitcnt lgkmcnt(5)                                       // 0000000097F8: BF8CC57F
	v_mfma_f32_16x16x32_fp8_fp8 v[84:87], a[136:137], v[44:45], v[84:87]// 0000000097FC: D3F30054 0D525988
	v_mfma_f32_16x16x32_fp8_fp8 v[88:91], a[152:153], v[44:45], v[88:91]// 000000009804: D3F30058 0D625998
	v_mfma_f32_16x16x32_fp8_fp8 v[84:87], a[138:139], v[46:47], v[84:87]// 00000000980C: D3F30054 0D525D8A
	v_mfma_f32_16x16x32_fp8_fp8 v[88:91], a[154:155], v[46:47], v[88:91]// 000000009814: D3F30058 0D625D9A
	s_waitcnt lgkmcnt(4)                                       // 00000000981C: BF8CC47F
	v_mfma_f32_16x16x32_fp8_fp8 v[84:87], a[140:141], v[48:49], v[84:87]// 000000009820: D3F30054 0D52618C
	v_mfma_f32_16x16x32_fp8_fp8 v[88:91], a[156:157], v[48:49], v[88:91]// 000000009828: D3F30058 0D62619C
	v_mfma_f32_16x16x32_fp8_fp8 v[84:87], a[142:143], v[50:51], v[84:87]// 000000009830: D3F30054 0D52658E
	v_mfma_f32_16x16x32_fp8_fp8 v[88:91], a[158:159], v[50:51], v[88:91]// 000000009838: D3F30058 0D62659E
	s_waitcnt lgkmcnt(3)                                       // 000000009840: BF8CC37F
	v_mfma_f32_16x16x32_fp8_fp8 v[92:95], a[128:129], v[52:53], 0// 000000009844: D3F3005C 0A026980
	v_mfma_f32_16x16x32_fp8_fp8 v[96:99], a[144:145], v[52:53], 0// 00000000984C: D3F30060 0A026990
	v_mfma_f32_16x16x32_fp8_fp8 v[92:95], a[130:131], v[54:55], v[92:95]// 000000009854: D3F3005C 0D726D82
	v_mfma_f32_16x16x32_fp8_fp8 v[96:99], a[146:147], v[54:55], v[96:99]// 00000000985C: D3F30060 0D826D92
	s_waitcnt lgkmcnt(2)                                       // 000000009864: BF8CC27F
	v_mfma_f32_16x16x32_fp8_fp8 v[92:95], a[132:133], v[56:57], v[92:95]// 000000009868: D3F3005C 0D727184
	v_mfma_f32_16x16x32_fp8_fp8 v[96:99], a[148:149], v[56:57], v[96:99]// 000000009870: D3F30060 0D827194
	v_mfma_f32_16x16x32_fp8_fp8 v[92:95], a[134:135], v[58:59], v[92:95]// 000000009878: D3F3005C 0D727586
	v_mfma_f32_16x16x32_fp8_fp8 v[96:99], a[150:151], v[58:59], v[96:99]// 000000009880: D3F30060 0D827596
	s_waitcnt lgkmcnt(1)                                       // 000000009888: BF8CC17F
	v_mfma_f32_16x16x32_fp8_fp8 v[92:95], a[136:137], v[60:61], v[92:95]// 00000000988C: D3F3005C 0D727988
	v_mfma_f32_16x16x32_fp8_fp8 v[96:99], a[152:153], v[60:61], v[96:99]// 000000009894: D3F30060 0D827998
	v_mfma_f32_16x16x32_fp8_fp8 v[92:95], a[138:139], v[62:63], v[92:95]// 00000000989C: D3F3005C 0D727D8A
	v_mfma_f32_16x16x32_fp8_fp8 v[96:99], a[154:155], v[62:63], v[96:99]// 0000000098A4: D3F30060 0D827D9A
	s_waitcnt lgkmcnt(0)                                       // 0000000098AC: BF8CC07F
	v_mfma_f32_16x16x32_fp8_fp8 v[92:95], a[140:141], v[64:65], v[92:95]// 0000000098B0: D3F3005C 0D72818C
	v_mfma_f32_16x16x32_fp8_fp8 v[96:99], a[156:157], v[64:65], v[96:99]// 0000000098B8: D3F30060 0D82819C
	v_mfma_f32_16x16x32_fp8_fp8 v[92:95], a[142:143], v[66:67], v[92:95]// 0000000098C0: D3F3005C 0D72858E
	v_mfma_f32_16x16x32_fp8_fp8 v[96:99], a[158:159], v[66:67], v[96:99]// 0000000098C8: D3F30060 0D82859E
	s_addk_i32 s64, 0x100                                      // 0000000098D0: B7400100
	s_branch label_04DE                                        // 0000000098D4: BF82E8A8

00000000000098d8 <label_1C36>:
	s_cmp_lt_i32 s64, s63                                      // 0000000098D8: BF043F40
	s_cbranch_scc0 label_338E                                  // 0000000098DC: BF841756
	s_waitcnt vmcnt(10)                                        // 0000000098E0: BF8C0F7A
	v_mfma_f32_16x16x32_fp8_fp8 v[4:7], a[32:33], a[0:1], 0    // 0000000098E4: D3F30004 1A020120
	s_add_u32 s12, s86, s69                                    // 0000000098EC: 800C4556
	s_addc_u32 s13, s87, 0                                     // 0000000098F0: 820D8057
	v_mfma_f32_16x16x32_fp8_fp8 v[4:7], a[34:35], a[2:3], v[4:7]// 0000000098F4: D3F30004 1C120522
	s_add_u32 s16, s88, s70                                    // 0000000098FC: 80104658
	s_addc_u32 s17, s89, 0                                     // 000000009900: 82118059
	v_mfma_f32_16x16x32_fp8_fp8 v[4:7], a[36:37], a[4:5], v[4:7]// 000000009904: D3F30004 1C120924
	buffer_load_dwordx4 a[64:67], v225, s[12:15], 0 offen      // 00000000990C: E05C1000 808340E1
	v_mfma_f32_16x16x32_fp8_fp8 v[4:7], a[38:39], a[6:7], v[4:7]// 000000009914: D3F30004 1C120D26
	s_add_u32 s20, s90, s71                                    // 00000000991C: 8014475A
	s_addc_u32 s21, s91, 0                                     // 000000009920: 8215805B
	v_mfma_f32_16x16x32_fp8_fp8 v[8:11], a[40:41], a[0:1], 0   // 000000009924: D3F30008 1A020128
	s_add_u32 s24, s92, s71                                    // 00000000992C: 8018475C
	s_addc_u32 s25, s93, 0                                     // 000000009930: 8219805D
	v_mfma_f32_16x16x32_fp8_fp8 v[8:11], a[42:43], a[2:3], v[8:11]// 000000009934: D3F30008 1C22052A
	s_add_u32 s69, s69, 0x1000                                 // 00000000993C: 8045FF45 00001000
	s_add_u32 s70, s70, 0x8000                                 // 000000009944: 8046FF46 00008000
	v_mfma_f32_16x16x32_fp8_fp8 v[8:11], a[44:45], a[4:5], v[8:11]// 00000000994C: D3F30008 1C22092C
	buffer_load_dwordx4 a[68:71], v226, s[12:15], 0 offen      // 000000009954: E05C1000 808344E2
	v_mfma_f32_16x16x32_fp8_fp8 v[8:11], a[46:47], a[6:7], v[8:11]// 00000000995C: D3F30008 1C220D2E
	s_add_u32 s71, s71, 0x400                                  // 000000009964: 8047FF47 00000400
	v_mfma_f32_16x16x32_fp8_fp8 v[12:15], a[48:49], a[0:1], 0  // 00000000996C: D3F3000C 1A020130
	v_mfma_f32_16x16x32_fp8_fp8 v[12:15], a[50:51], a[2:3], v[12:15]// 000000009974: D3F3000C 1C320532
	v_mfma_f32_16x16x32_fp8_fp8 v[12:15], a[52:53], a[4:5], v[12:15]// 00000000997C: D3F3000C 1C320934
	buffer_load_dwordx4 a[72:75], v225, s[12:15], 0 offen offset:1024// 000000009984: E05C1400 808348E1
	v_mfma_f32_16x16x32_fp8_fp8 v[12:15], a[54:55], a[6:7], v[12:15]// 00000000998C: D3F3000C 1C320D36
	v_mfma_f32_16x16x32_fp8_fp8 v[16:19], a[56:57], a[0:1], 0  // 000000009994: D3F30010 1A020138
	v_mfma_f32_16x16x32_fp8_fp8 v[16:19], a[58:59], a[2:3], v[16:19]// 00000000999C: D3F30010 1C42053A
	v_mfma_f32_16x16x32_fp8_fp8 v[16:19], a[60:61], a[4:5], v[16:19]// 0000000099A4: D3F30010 1C42093C
	buffer_load_dwordx4 a[76:79], v226, s[12:15], 0 offen offset:1024// 0000000099AC: E05C1400 80834CE2
	v_mfma_f32_16x16x32_fp8_fp8 v[16:19], a[62:63], a[6:7], v[16:19]// 0000000099B4: D3F30010 1C420D3E
	v_mfma_f32_16x16x32_fp8_fp8 v[20:23], a[32:33], a[8:9], 0  // 0000000099BC: D3F30014 1A021120
	v_mfma_f32_16x16x32_fp8_fp8 v[20:23], a[34:35], a[10:11], v[20:23]// 0000000099C4: D3F30014 1C521522
	v_mfma_f32_16x16x32_fp8_fp8 v[20:23], a[36:37], a[12:13], v[20:23]// 0000000099CC: D3F30014 1C521924
	buffer_load_dwordx4 a[80:83], v225, s[12:15], 0 offen offset:2048// 0000000099D4: E05C1800 808350E1
	v_mfma_f32_16x16x32_fp8_fp8 v[20:23], a[38:39], a[14:15], v[20:23]// 0000000099DC: D3F30014 1C521D26
	v_mfma_f32_16x16x32_fp8_fp8 v[24:27], a[40:41], a[8:9], 0  // 0000000099E4: D3F30018 1A021128
	v_mfma_f32_16x16x32_fp8_fp8 v[24:27], a[42:43], a[10:11], v[24:27]// 0000000099EC: D3F30018 1C62152A
	v_mfma_f32_16x16x32_fp8_fp8 v[24:27], a[44:45], a[12:13], v[24:27]// 0000000099F4: D3F30018 1C62192C
	buffer_load_dwordx4 a[84:87], v226, s[12:15], 0 offen offset:2048// 0000000099FC: E05C1800 808354E2
	v_mfma_f32_16x16x32_fp8_fp8 v[24:27], a[46:47], a[14:15], v[24:27]// 000000009A04: D3F30018 1C621D2E
	v_mfma_f32_16x16x32_fp8_fp8 v[28:31], a[48:49], a[8:9], 0  // 000000009A0C: D3F3001C 1A021130
	v_mfma_f32_16x16x32_fp8_fp8 v[28:31], a[50:51], a[10:11], v[28:31]// 000000009A14: D3F3001C 1C721532
	v_mfma_f32_16x16x32_fp8_fp8 v[28:31], a[52:53], a[12:13], v[28:31]// 000000009A1C: D3F3001C 1C721934
	buffer_load_dwordx4 a[88:91], v225, s[12:15], 0 offen offset:3072// 000000009A24: E05C1C00 808358E1
	v_mfma_f32_16x16x32_fp8_fp8 v[28:31], a[54:55], a[14:15], v[28:31]// 000000009A2C: D3F3001C 1C721D36
	v_mfma_f32_16x16x32_fp8_fp8 v[32:35], a[56:57], a[8:9], 0  // 000000009A34: D3F30020 1A021138
	v_mfma_f32_16x16x32_fp8_fp8 v[32:35], a[58:59], a[10:11], v[32:35]// 000000009A3C: D3F30020 1C82153A
	v_mfma_f32_16x16x32_fp8_fp8 v[32:35], a[60:61], a[12:13], v[32:35]// 000000009A44: D3F30020 1C82193C
	buffer_load_dwordx4 a[92:95], v226, s[12:15], 0 offen offset:3072// 000000009A4C: E05C1C00 80835CE2
	v_mfma_f32_16x16x32_fp8_fp8 v[32:35], a[62:63], a[14:15], v[32:35]// 000000009A54: D3F30020 1C821D3E
	v_mfma_f32_16x16x32_fp8_fp8 v[36:39], a[32:33], a[16:17], 0// 000000009A5C: D3F30024 1A022120
	v_mfma_f32_16x16x32_fp8_fp8 v[36:39], a[34:35], a[18:19], v[36:39]// 000000009A64: D3F30024 1C922522
	v_mfma_f32_16x16x32_fp8_fp8 v[36:39], a[36:37], a[20:21], v[36:39]// 000000009A6C: D3F30024 1C922924
	v_mfma_f32_16x16x32_fp8_fp8 v[36:39], a[38:39], a[22:23], v[36:39]// 000000009A74: D3F30024 1C922D26
	v_mfma_f32_16x16x32_fp8_fp8 v[40:43], a[40:41], a[16:17], 0// 000000009A7C: D3F30028 1A022128
	v_mfma_f32_16x16x32_fp8_fp8 v[40:43], a[42:43], a[18:19], v[40:43]// 000000009A84: D3F30028 1CA2252A
	v_mfma_f32_16x16x32_fp8_fp8 v[40:43], a[44:45], a[20:21], v[40:43]// 000000009A8C: D3F30028 1CA2292C
	v_mfma_f32_16x16x32_fp8_fp8 v[40:43], a[46:47], a[22:23], v[40:43]// 000000009A94: D3F30028 1CA22D2E
	v_mfma_f32_16x16x32_fp8_fp8 v[44:47], a[48:49], a[16:17], 0// 000000009A9C: D3F3002C 1A022130
	v_mfma_f32_16x16x32_fp8_fp8 v[44:47], a[50:51], a[18:19], v[44:47]// 000000009AA4: D3F3002C 1CB22532
	v_mfma_f32_16x16x32_fp8_fp8 v[44:47], a[52:53], a[20:21], v[44:47]// 000000009AAC: D3F3002C 1CB22934
	v_mfma_f32_16x16x32_fp8_fp8 v[44:47], a[54:55], a[22:23], v[44:47]// 000000009AB4: D3F3002C 1CB22D36
	v_mfma_f32_16x16x32_fp8_fp8 v[48:51], a[56:57], a[16:17], 0// 000000009ABC: D3F30030 1A022138
	v_mfma_f32_16x16x32_fp8_fp8 v[48:51], a[58:59], a[18:19], v[48:51]// 000000009AC4: D3F30030 1CC2253A
	v_mfma_f32_16x16x32_fp8_fp8 v[48:51], a[60:61], a[20:21], v[48:51]// 000000009ACC: D3F30030 1CC2293C
	v_mfma_f32_16x16x32_fp8_fp8 v[48:51], a[62:63], a[22:23], v[48:51]// 000000009AD4: D3F30030 1CC22D3E
	v_mfma_f32_16x16x32_fp8_fp8 v[52:55], a[32:33], a[24:25], 0// 000000009ADC: D3F30034 1A023120
	v_mfma_f32_16x16x32_fp8_fp8 v[52:55], a[34:35], a[26:27], v[52:55]// 000000009AE4: D3F30034 1CD23522
	v_mfma_f32_16x16x32_fp8_fp8 v[52:55], a[36:37], a[28:29], v[52:55]// 000000009AEC: D3F30034 1CD23924
	v_mfma_f32_16x16x32_fp8_fp8 v[52:55], a[38:39], a[30:31], v[52:55]// 000000009AF4: D3F30034 1CD23D26
	v_mfma_f32_16x16x32_fp8_fp8 v[56:59], a[40:41], a[24:25], 0// 000000009AFC: D3F30038 1A023128
	v_mfma_f32_16x16x32_fp8_fp8 v[56:59], a[42:43], a[26:27], v[56:59]// 000000009B04: D3F30038 1CE2352A
	v_mfma_f32_16x16x32_fp8_fp8 v[56:59], a[44:45], a[28:29], v[56:59]// 000000009B0C: D3F30038 1CE2392C
	v_mfma_f32_16x16x32_fp8_fp8 v[56:59], a[46:47], a[30:31], v[56:59]// 000000009B14: D3F30038 1CE23D2E
	v_mfma_f32_16x16x32_fp8_fp8 v[60:63], a[48:49], a[24:25], 0// 000000009B1C: D3F3003C 1A023130
	v_mfma_f32_16x16x32_fp8_fp8 v[60:63], a[50:51], a[26:27], v[60:63]// 000000009B24: D3F3003C 1CF23532
	v_mfma_f32_16x16x32_fp8_fp8 v[60:63], a[52:53], a[28:29], v[60:63]// 000000009B2C: D3F3003C 1CF23934
	v_mfma_f32_16x16x32_fp8_fp8 v[60:63], a[54:55], a[30:31], v[60:63]// 000000009B34: D3F3003C 1CF23D36
	v_mfma_f32_16x16x32_fp8_fp8 v[64:67], a[56:57], a[24:25], 0// 000000009B3C: D3F30040 1A023138
	v_mfma_f32_16x16x32_fp8_fp8 v[64:67], a[58:59], a[26:27], v[64:67]// 000000009B44: D3F30040 1D02353A
	v_mfma_f32_16x16x32_fp8_fp8 v[64:67], a[60:61], a[28:29], v[64:67]// 000000009B4C: D3F30040 1D02393C
	v_mfma_f32_16x16x32_fp8_fp8 v[64:67], a[62:63], a[30:31], v[64:67]// 000000009B54: D3F30040 1D023D3E
	s_waitcnt vmcnt(16)                                        // 000000009B5C: BF8C4F70
	v_pk_mul_f32 v[4:5], v[132:133], v[4:5]                    // 000000009B60: D3B14004 18020984
	v_pk_mul_f32 v[6:7], v[132:133], v[6:7]                    // 000000009B68: D3B14006 18020D84
	v_mul_f32_dpp v4, v140, v4 row_newbcast:0 row_mask:0xf bank_mask:0xf// 000000009B70: 0A0808FA FF01508C
	v_mul_f32_dpp v5, v140, v5 row_newbcast:1 row_mask:0xf bank_mask:0xf// 000000009B78: 0A0A0AFA FF01518C
	v_mul_f32_dpp v6, v140, v6 row_newbcast:2 row_mask:0xf bank_mask:0xf// 000000009B80: 0A0C0CFA FF01528C
	v_mul_f32_dpp v7, v140, v7 row_newbcast:3 row_mask:0xf bank_mask:0xf// 000000009B88: 0A0E0EFA FF01538C
	v_pk_mul_f32 v[8:9], v[132:133], v[8:9]                    // 000000009B90: D3B14008 18021184
	v_pk_mul_f32 v[10:11], v[132:133], v[10:11]                // 000000009B98: D3B1400A 18021584
	v_mul_f32_dpp v8, v140, v8 row_newbcast:4 row_mask:0xf bank_mask:0xf// 000000009BA0: 0A1010FA FF01548C
	v_mul_f32_dpp v9, v140, v9 row_newbcast:5 row_mask:0xf bank_mask:0xf// 000000009BA8: 0A1212FA FF01558C
	v_mul_f32_dpp v10, v140, v10 row_newbcast:6 row_mask:0xf bank_mask:0xf// 000000009BB0: 0A1414FA FF01568C
	v_mul_f32_dpp v11, v140, v11 row_newbcast:7 row_mask:0xf bank_mask:0xf// 000000009BB8: 0A1616FA FF01578C
	v_pk_mul_f32 v[12:13], v[132:133], v[12:13]                // 000000009BC0: D3B1400C 18021984
	v_pk_mul_f32 v[14:15], v[132:133], v[14:15]                // 000000009BC8: D3B1400E 18021D84
	v_mul_f32_dpp v12, v140, v12 row_newbcast:8 row_mask:0xf bank_mask:0xf// 000000009BD0: 0A1818FA FF01588C
	v_mul_f32_dpp v13, v140, v13 row_newbcast:9 row_mask:0xf bank_mask:0xf// 000000009BD8: 0A1A1AFA FF01598C
	v_mul_f32_dpp v14, v140, v14 row_newbcast:10 row_mask:0xf bank_mask:0xf// 000000009BE0: 0A1C1CFA FF015A8C
	v_mul_f32_dpp v15, v140, v15 row_newbcast:11 row_mask:0xf bank_mask:0xf// 000000009BE8: 0A1E1EFA FF015B8C
	v_pk_mul_f32 v[16:17], v[132:133], v[16:17]                // 000000009BF0: D3B14010 18022184
	v_pk_mul_f32 v[18:19], v[132:133], v[18:19]                // 000000009BF8: D3B14012 18022584
	v_mul_f32_dpp v16, v140, v16 row_newbcast:12 row_mask:0xf bank_mask:0xf// 000000009C00: 0A2020FA FF015C8C
	v_mul_f32_dpp v17, v140, v17 row_newbcast:13 row_mask:0xf bank_mask:0xf// 000000009C08: 0A2222FA FF015D8C
	v_mul_f32_dpp v18, v140, v18 row_newbcast:14 row_mask:0xf bank_mask:0xf// 000000009C10: 0A2424FA FF015E8C
	v_mul_f32_dpp v19, v140, v19 row_newbcast:15 row_mask:0xf bank_mask:0xf// 000000009C18: 0A2626FA FF015F8C
	v_pk_mul_f32 v[20:21], v[134:135], v[20:21]                // 000000009C20: D3B14014 18022986
	v_pk_mul_f32 v[22:23], v[134:135], v[22:23]                // 000000009C28: D3B14016 18022D86
	v_mul_f32_dpp v20, v140, v20 row_newbcast:0 row_mask:0xf bank_mask:0xf// 000000009C30: 0A2828FA FF01508C
	v_mul_f32_dpp v21, v140, v21 row_newbcast:1 row_mask:0xf bank_mask:0xf// 000000009C38: 0A2A2AFA FF01518C
	v_mul_f32_dpp v22, v140, v22 row_newbcast:2 row_mask:0xf bank_mask:0xf// 000000009C40: 0A2C2CFA FF01528C
	v_mul_f32_dpp v23, v140, v23 row_newbcast:3 row_mask:0xf bank_mask:0xf// 000000009C48: 0A2E2EFA FF01538C
	v_pk_mul_f32 v[24:25], v[134:135], v[24:25]                // 000000009C50: D3B14018 18023186
	v_pk_mul_f32 v[26:27], v[134:135], v[26:27]                // 000000009C58: D3B1401A 18023586
	v_mul_f32_dpp v24, v140, v24 row_newbcast:4 row_mask:0xf bank_mask:0xf// 000000009C60: 0A3030FA FF01548C
	v_mul_f32_dpp v25, v140, v25 row_newbcast:5 row_mask:0xf bank_mask:0xf// 000000009C68: 0A3232FA FF01558C
	v_mul_f32_dpp v26, v140, v26 row_newbcast:6 row_mask:0xf bank_mask:0xf// 000000009C70: 0A3434FA FF01568C
	v_mul_f32_dpp v27, v140, v27 row_newbcast:7 row_mask:0xf bank_mask:0xf// 000000009C78: 0A3636FA FF01578C
	v_pk_mul_f32 v[28:29], v[134:135], v[28:29]                // 000000009C80: D3B1401C 18023986
	v_pk_mul_f32 v[30:31], v[134:135], v[30:31]                // 000000009C88: D3B1401E 18023D86
	v_mul_f32_dpp v28, v140, v28 row_newbcast:8 row_mask:0xf bank_mask:0xf// 000000009C90: 0A3838FA FF01588C
	v_mul_f32_dpp v29, v140, v29 row_newbcast:9 row_mask:0xf bank_mask:0xf// 000000009C98: 0A3A3AFA FF01598C
	v_mul_f32_dpp v30, v140, v30 row_newbcast:10 row_mask:0xf bank_mask:0xf// 000000009CA0: 0A3C3CFA FF015A8C
	v_mul_f32_dpp v31, v140, v31 row_newbcast:11 row_mask:0xf bank_mask:0xf// 000000009CA8: 0A3E3EFA FF015B8C
	v_pk_mul_f32 v[32:33], v[134:135], v[32:33]                // 000000009CB0: D3B14020 18024186
	v_pk_mul_f32 v[34:35], v[134:135], v[34:35]                // 000000009CB8: D3B14022 18024586
	v_mul_f32_dpp v32, v140, v32 row_newbcast:12 row_mask:0xf bank_mask:0xf// 000000009CC0: 0A4040FA FF015C8C
	v_mul_f32_dpp v33, v140, v33 row_newbcast:13 row_mask:0xf bank_mask:0xf// 000000009CC8: 0A4242FA FF015D8C
	v_mul_f32_dpp v34, v140, v34 row_newbcast:14 row_mask:0xf bank_mask:0xf// 000000009CD0: 0A4444FA FF015E8C
	v_mul_f32_dpp v35, v140, v35 row_newbcast:15 row_mask:0xf bank_mask:0xf// 000000009CD8: 0A4646FA FF015F8C
	v_pk_mul_f32 v[36:37], v[136:137], v[36:37]                // 000000009CE0: D3B14024 18024988
	v_pk_mul_f32 v[38:39], v[136:137], v[38:39]                // 000000009CE8: D3B14026 18024D88
	v_mul_f32_dpp v36, v140, v36 row_newbcast:0 row_mask:0xf bank_mask:0xf// 000000009CF0: 0A4848FA FF01508C
	v_mul_f32_dpp v37, v140, v37 row_newbcast:1 row_mask:0xf bank_mask:0xf// 000000009CF8: 0A4A4AFA FF01518C
	v_mul_f32_dpp v38, v140, v38 row_newbcast:2 row_mask:0xf bank_mask:0xf// 000000009D00: 0A4C4CFA FF01528C
	v_mul_f32_dpp v39, v140, v39 row_newbcast:3 row_mask:0xf bank_mask:0xf// 000000009D08: 0A4E4EFA FF01538C
	v_pk_mul_f32 v[40:41], v[136:137], v[40:41]                // 000000009D10: D3B14028 18025188
	v_pk_mul_f32 v[42:43], v[136:137], v[42:43]                // 000000009D18: D3B1402A 18025588
	v_mul_f32_dpp v40, v140, v40 row_newbcast:4 row_mask:0xf bank_mask:0xf// 000000009D20: 0A5050FA FF01548C
	v_mul_f32_dpp v41, v140, v41 row_newbcast:5 row_mask:0xf bank_mask:0xf// 000000009D28: 0A5252FA FF01558C
	v_mul_f32_dpp v42, v140, v42 row_newbcast:6 row_mask:0xf bank_mask:0xf// 000000009D30: 0A5454FA FF01568C
	v_mul_f32_dpp v43, v140, v43 row_newbcast:7 row_mask:0xf bank_mask:0xf// 000000009D38: 0A5656FA FF01578C
	v_pk_mul_f32 v[44:45], v[136:137], v[44:45]                // 000000009D40: D3B1402C 18025988
	v_pk_mul_f32 v[46:47], v[136:137], v[46:47]                // 000000009D48: D3B1402E 18025D88
	v_mul_f32_dpp v44, v140, v44 row_newbcast:8 row_mask:0xf bank_mask:0xf// 000000009D50: 0A5858FA FF01588C
	v_mul_f32_dpp v45, v140, v45 row_newbcast:9 row_mask:0xf bank_mask:0xf// 000000009D58: 0A5A5AFA FF01598C
	v_mul_f32_dpp v46, v140, v46 row_newbcast:10 row_mask:0xf bank_mask:0xf// 000000009D60: 0A5C5CFA FF015A8C
	v_mul_f32_dpp v47, v140, v47 row_newbcast:11 row_mask:0xf bank_mask:0xf// 000000009D68: 0A5E5EFA FF015B8C
	v_pk_mul_f32 v[48:49], v[136:137], v[48:49]                // 000000009D70: D3B14030 18026188
	v_pk_mul_f32 v[50:51], v[136:137], v[50:51]                // 000000009D78: D3B14032 18026588
	v_mul_f32_dpp v48, v140, v48 row_newbcast:12 row_mask:0xf bank_mask:0xf// 000000009D80: 0A6060FA FF015C8C
	v_mul_f32_dpp v49, v140, v49 row_newbcast:13 row_mask:0xf bank_mask:0xf// 000000009D88: 0A6262FA FF015D8C
	v_mul_f32_dpp v50, v140, v50 row_newbcast:14 row_mask:0xf bank_mask:0xf// 000000009D90: 0A6464FA FF015E8C
	v_mul_f32_dpp v51, v140, v51 row_newbcast:15 row_mask:0xf bank_mask:0xf// 000000009D98: 0A6666FA FF015F8C
	v_pk_mul_f32 v[52:53], v[138:139], v[52:53]                // 000000009DA0: D3B14034 1802698A
	v_pk_mul_f32 v[54:55], v[138:139], v[54:55]                // 000000009DA8: D3B14036 18026D8A
	v_mul_f32_dpp v52, v140, v52 row_newbcast:0 row_mask:0xf bank_mask:0xf// 000000009DB0: 0A6868FA FF01508C
	v_mul_f32_dpp v53, v140, v53 row_newbcast:1 row_mask:0xf bank_mask:0xf// 000000009DB8: 0A6A6AFA FF01518C
	v_mul_f32_dpp v54, v140, v54 row_newbcast:2 row_mask:0xf bank_mask:0xf// 000000009DC0: 0A6C6CFA FF01528C
	v_mul_f32_dpp v55, v140, v55 row_newbcast:3 row_mask:0xf bank_mask:0xf// 000000009DC8: 0A6E6EFA FF01538C
	v_pk_mul_f32 v[56:57], v[138:139], v[56:57]                // 000000009DD0: D3B14038 1802718A
	v_pk_mul_f32 v[58:59], v[138:139], v[58:59]                // 000000009DD8: D3B1403A 1802758A
	v_mul_f32_dpp v56, v140, v56 row_newbcast:4 row_mask:0xf bank_mask:0xf// 000000009DE0: 0A7070FA FF01548C
	v_mul_f32_dpp v57, v140, v57 row_newbcast:5 row_mask:0xf bank_mask:0xf// 000000009DE8: 0A7272FA FF01558C
	v_mul_f32_dpp v58, v140, v58 row_newbcast:6 row_mask:0xf bank_mask:0xf// 000000009DF0: 0A7474FA FF01568C
	v_mul_f32_dpp v59, v140, v59 row_newbcast:7 row_mask:0xf bank_mask:0xf// 000000009DF8: 0A7676FA FF01578C
	v_pk_mul_f32 v[60:61], v[138:139], v[60:61]                // 000000009E00: D3B1403C 1802798A
	v_pk_mul_f32 v[62:63], v[138:139], v[62:63]                // 000000009E08: D3B1403E 18027D8A
	v_mul_f32_dpp v60, v140, v60 row_newbcast:8 row_mask:0xf bank_mask:0xf// 000000009E10: 0A7878FA FF01588C
	v_mul_f32_dpp v61, v140, v61 row_newbcast:9 row_mask:0xf bank_mask:0xf// 000000009E18: 0A7A7AFA FF01598C
	v_mul_f32_dpp v62, v140, v62 row_newbcast:10 row_mask:0xf bank_mask:0xf// 000000009E20: 0A7C7CFA FF015A8C
	v_mul_f32_dpp v63, v140, v63 row_newbcast:11 row_mask:0xf bank_mask:0xf// 000000009E28: 0A7E7EFA FF015B8C
	v_pk_mul_f32 v[64:65], v[138:139], v[64:65]                // 000000009E30: D3B14040 1802818A
	v_pk_mul_f32 v[66:67], v[138:139], v[66:67]                // 000000009E38: D3B14042 1802858A
	v_mul_f32_dpp v64, v140, v64 row_newbcast:12 row_mask:0xf bank_mask:0xf// 000000009E40: 0A8080FA FF015C8C
	v_mul_f32_dpp v65, v140, v65 row_newbcast:13 row_mask:0xf bank_mask:0xf// 000000009E48: 0A8282FA FF015D8C
	v_mul_f32_dpp v66, v140, v66 row_newbcast:14 row_mask:0xf bank_mask:0xf// 000000009E50: 0A8484FA FF015E8C
	v_mul_f32_dpp v67, v140, v67 row_newbcast:15 row_mask:0xf bank_mask:0xf// 000000009E58: 0A8686FA FF015F8C
	v_mov_b32_e32 v176, v4                                     // 000000009E60: 7F600304
	v_max3_f32 v176, v4, v5, v176                              // 000000009E64: D1D300B0 06C20B04
	v_max3_f32 v176, v6, v7, v176                              // 000000009E6C: D1D300B0 06C20F06
	v_max3_f32 v176, v8, v9, v176                              // 000000009E74: D1D300B0 06C21308
	v_max3_f32 v176, v10, v11, v176                            // 000000009E7C: D1D300B0 06C2170A
	v_max3_f32 v176, v12, v13, v176                            // 000000009E84: D1D300B0 06C21B0C
	v_max3_f32 v176, v14, v15, v176                            // 000000009E8C: D1D300B0 06C21F0E
	v_max3_f32 v176, v16, v17, v176                            // 000000009E94: D1D300B0 06C22310
	v_max3_f32 v176, v18, v19, v176                            // 000000009E9C: D1D300B0 06C22712
	v_mov_b32_e32 v177, v20                                    // 000000009EA4: 7F620314
	v_max3_f32 v177, v20, v21, v177                            // 000000009EA8: D1D300B1 06C62B14
	v_max3_f32 v177, v22, v23, v177                            // 000000009EB0: D1D300B1 06C62F16
	v_max3_f32 v177, v24, v25, v177                            // 000000009EB8: D1D300B1 06C63318
	v_max3_f32 v177, v26, v27, v177                            // 000000009EC0: D1D300B1 06C6371A
	v_max3_f32 v177, v28, v29, v177                            // 000000009EC8: D1D300B1 06C63B1C
	v_max3_f32 v177, v30, v31, v177                            // 000000009ED0: D1D300B1 06C63F1E
	v_max3_f32 v177, v32, v33, v177                            // 000000009ED8: D1D300B1 06C64320
	v_max3_f32 v177, v34, v35, v177                            // 000000009EE0: D1D300B1 06C64722
	v_mov_b32_e32 v178, v36                                    // 000000009EE8: 7F640324
	v_max3_f32 v178, v36, v37, v178                            // 000000009EEC: D1D300B2 06CA4B24
	v_max3_f32 v178, v38, v39, v178                            // 000000009EF4: D1D300B2 06CA4F26
	v_max3_f32 v178, v40, v41, v178                            // 000000009EFC: D1D300B2 06CA5328
	v_max3_f32 v178, v42, v43, v178                            // 000000009F04: D1D300B2 06CA572A
	v_max3_f32 v178, v44, v45, v178                            // 000000009F0C: D1D300B2 06CA5B2C
	v_max3_f32 v178, v46, v47, v178                            // 000000009F14: D1D300B2 06CA5F2E
	v_max3_f32 v178, v48, v49, v178                            // 000000009F1C: D1D300B2 06CA6330
	v_max3_f32 v178, v50, v51, v178                            // 000000009F24: D1D300B2 06CA6732
	v_mov_b32_e32 v179, v52                                    // 000000009F2C: 7F660334
	v_max3_f32 v179, v52, v53, v179                            // 000000009F30: D1D300B3 06CE6B34
	v_max3_f32 v179, v54, v55, v179                            // 000000009F38: D1D300B3 06CE6F36
	v_max3_f32 v179, v56, v57, v179                            // 000000009F40: D1D300B3 06CE7338
	v_max3_f32 v179, v58, v59, v179                            // 000000009F48: D1D300B3 06CE773A
	v_max3_f32 v179, v60, v61, v179                            // 000000009F50: D1D300B3 06CE7B3C
	v_max3_f32 v179, v62, v63, v179                            // 000000009F58: D1D300B3 06CE7F3E
	v_max3_f32 v179, v64, v65, v179                            // 000000009F60: D1D300B3 06CE8340
	v_max3_f32 v179, v66, v67, v179                            // 000000009F68: D1D300B3 06CE8742
	v_pk_mul_f32 v[100:101], v[160:161], v[100:101]            // 000000009F70: D3B14064 1802C9A0
	v_pk_mul_f32 v[102:103], v[160:161], v[102:103]            // 000000009F78: D3B14066 1802CDA0
	v_pk_mul_f32 v[104:105], v[160:161], v[104:105]            // 000000009F80: D3B14068 1802D1A0
	v_pk_mul_f32 v[106:107], v[160:161], v[106:107]            // 000000009F88: D3B1406A 1802D5A0
	v_pk_mul_f32 v[108:109], v[162:163], v[108:109]            // 000000009F90: D3B1406C 1802D9A2
	v_pk_mul_f32 v[110:111], v[162:163], v[110:111]            // 000000009F98: D3B1406E 1802DDA2
	v_pk_mul_f32 v[112:113], v[162:163], v[112:113]            // 000000009FA0: D3B14070 1802E1A2
	v_pk_mul_f32 v[114:115], v[162:163], v[114:115]            // 000000009FA8: D3B14072 1802E5A2
	v_pk_mul_f32 v[116:117], v[164:165], v[116:117]            // 000000009FB0: D3B14074 1802E9A4
	v_pk_mul_f32 v[118:119], v[164:165], v[118:119]            // 000000009FB8: D3B14076 1802EDA4
	v_pk_mul_f32 v[120:121], v[164:165], v[120:121]            // 000000009FC0: D3B14078 1802F1A4
	v_pk_mul_f32 v[122:123], v[164:165], v[122:123]            // 000000009FC8: D3B1407A 1802F5A4
	v_pk_mul_f32 v[124:125], v[166:167], v[124:125]            // 000000009FD0: D3B1407C 1802F9A6
	v_pk_mul_f32 v[126:127], v[166:167], v[126:127]            // 000000009FD8: D3B1407E 1802FDA6
	v_pk_mul_f32 v[128:129], v[166:167], v[128:129]            // 000000009FE0: D3B14080 180301A6
	v_pk_mul_f32 v[130:131], v[166:167], v[130:131]            // 000000009FE8: D3B14082 180305A6
	ds_bpermute_b32 v180, v200, v176                           // 000000009FF0: D87E0000 B400B0C8
	ds_bpermute_b32 v181, v201, v176                           // 000000009FF8: D87E0000 B500B0C9
	ds_bpermute_b32 v182, v202, v176                           // 00000000A000: D87E0000 B600B0CA
	ds_bpermute_b32 v183, v200, v177                           // 00000000A008: D87E0000 B700B1C8
	ds_bpermute_b32 v184, v201, v177                           // 00000000A010: D87E0000 B800B1C9
	ds_bpermute_b32 v185, v202, v177                           // 00000000A018: D87E0000 B900B1CA
	ds_bpermute_b32 v186, v200, v178                           // 00000000A020: D87E0000 BA00B2C8
	ds_bpermute_b32 v187, v201, v178                           // 00000000A028: D87E0000 BB00B2C9
	ds_bpermute_b32 v188, v202, v178                           // 00000000A030: D87E0000 BC00B2CA
	ds_bpermute_b32 v189, v200, v179                           // 00000000A038: D87E0000 BD00B3C8
	ds_bpermute_b32 v190, v201, v179                           // 00000000A040: D87E0000 BE00B3C9
	ds_bpermute_b32 v191, v202, v179                           // 00000000A048: D87E0000 BF00B3CA
	s_waitcnt lgkmcnt(9)                                       // 00000000A050: BF8CC97F
	v_max3_f32 v176, v180, v181, v176                          // 00000000A054: D1D300B0 06C36BB4
	v_max_f32_e32 v176, v182, v176                             // 00000000A05C: 176161B6
	s_waitcnt lgkmcnt(6)                                       // 00000000A060: BF8CC67F
	v_max3_f32 v177, v183, v184, v177                          // 00000000A064: D1D300B1 06C771B7
	v_max_f32_e32 v177, v185, v177                             // 00000000A06C: 176363B9
	s_waitcnt lgkmcnt(3)                                       // 00000000A070: BF8CC37F
	v_max3_f32 v178, v186, v187, v178                          // 00000000A074: D1D300B2 06CB77BA
	v_max_f32_e32 v178, v188, v178                             // 00000000A07C: 176565BC
	s_waitcnt lgkmcnt(0)                                       // 00000000A080: BF8CC07F
	v_max3_f32 v179, v189, v190, v179                          // 00000000A084: D1D300B3 06CF7DBD
	v_max_f32_e32 v179, v191, v179                             // 00000000A08C: 176767BF
	ds_write_b128 v247, v[176:179]                             // 00000000A090: D9BE0000 0000B0F7
	s_waitcnt lgkmcnt(0)                                       // 00000000A098: BF8CC07F
	s_barrier                                                  // 00000000A09C: BF8A0000
	v_pk_mul_f32 v[68:69], v[144:145], v[68:69]                // 00000000A0A0: D3B14044 18028990
	v_pk_mul_f32 v[70:71], v[144:145], v[70:71]                // 00000000A0A8: D3B14046 18028D90
	v_pk_mul_f32 v[72:73], v[144:145], v[72:73]                // 00000000A0B0: D3B14048 18029190
	v_pk_mul_f32 v[74:75], v[144:145], v[74:75]                // 00000000A0B8: D3B1404A 18029590
	v_pk_mul_f32 v[76:77], v[146:147], v[76:77]                // 00000000A0C0: D3B1404C 18029992
	v_pk_mul_f32 v[78:79], v[146:147], v[78:79]                // 00000000A0C8: D3B1404E 18029D92
	v_pk_mul_f32 v[80:81], v[146:147], v[80:81]                // 00000000A0D0: D3B14050 1802A192
	v_pk_mul_f32 v[82:83], v[146:147], v[82:83]                // 00000000A0D8: D3B14052 1802A592
	v_pk_mul_f32 v[84:85], v[148:149], v[84:85]                // 00000000A0E0: D3B14054 1802A994
	v_pk_mul_f32 v[86:87], v[148:149], v[86:87]                // 00000000A0E8: D3B14056 1802AD94
	v_pk_mul_f32 v[88:89], v[148:149], v[88:89]                // 00000000A0F0: D3B14058 1802B194
	v_pk_mul_f32 v[90:91], v[148:149], v[90:91]                // 00000000A0F8: D3B1405A 1802B594
	v_pk_mul_f32 v[92:93], v[150:151], v[92:93]                // 00000000A100: D3B1405C 1802B996
	v_pk_mul_f32 v[94:95], v[150:151], v[94:95]                // 00000000A108: D3B1405E 1802BD96
	v_pk_mul_f32 v[96:97], v[150:151], v[96:97]                // 00000000A110: D3B14060 1802C196
	v_pk_mul_f32 v[98:99], v[150:151], v[98:99]                // 00000000A118: D3B14062 1802C596
	ds_read_b128 v[180:183], v248                              // 00000000A120: D9FE0000 B40000F8
	ds_read_b128 v[184:187], v248 offset:256                   // 00000000A128: D9FE0100 B80000F8
	ds_read_b128 v[188:191], v248 offset:512                   // 00000000A130: D9FE0200 BC0000F8
	ds_read_b128 v[192:195], v248 offset:768                   // 00000000A138: D9FE0300 C00000F8
	s_waitcnt lgkmcnt(0)                                       // 00000000A140: BF8CC07F
	v_max3_f32 v176, v180, v184, v176                          // 00000000A144: D1D300B0 06C371B4
	v_max3_f32 v177, v181, v185, v177                          // 00000000A14C: D1D300B1 06C773B5
	v_max3_f32 v178, v182, v186, v178                          // 00000000A154: D1D300B2 06CB75B6
	v_max3_f32 v179, v183, v187, v179                          // 00000000A15C: D1D300B3 06CF77B7
	v_max3_f32 v176, v188, v192, v176                          // 00000000A164: D1D300B0 06C381BC
	v_max3_f32 v177, v189, v193, v177                          // 00000000A16C: D1D300B1 06C783BD
	v_max3_f32 v178, v190, v194, v178                          // 00000000A174: D1D300B2 06CB85BE
	v_max3_f32 v179, v191, v195, v179                          // 00000000A17C: D1D300B3 06CF87BF
	v_max_f32_e32 v156, v176, v152                             // 00000000A184: 173931B0
	v_mul_f32_e64 v196, -s46, v156                             // 00000000A188: D10500C4 2003382E
	v_mov_b32_e32 v197, v196                                   // 00000000A190: 7F8A03C4
	v_pk_fma_f32 v[4:5], v[4:5], s[46:47], v[196:197]          // 00000000A194: D3B04004 1F105D04
	v_pk_fma_f32 v[6:7], v[6:7], s[46:47], v[196:197]          // 00000000A19C: D3B04006 1F105D06
	v_exp_f32_e32 v4, v4                                       // 00000000A1A4: 7E084104
	v_exp_f32_e32 v5, v5                                       // 00000000A1A8: 7E0A4105
	v_exp_f32_e32 v6, v6                                       // 00000000A1AC: 7E0C4106
	v_exp_f32_e32 v7, v7                                       // 00000000A1B0: 7E0E4107
	v_pk_fma_f32 v[8:9], v[8:9], s[46:47], v[196:197]          // 00000000A1B4: D3B04008 1F105D08
	v_pk_fma_f32 v[10:11], v[10:11], s[46:47], v[196:197]      // 00000000A1BC: D3B0400A 1F105D0A
	v_exp_f32_e32 v8, v8                                       // 00000000A1C4: 7E104108
	v_exp_f32_e32 v9, v9                                       // 00000000A1C8: 7E124109
	v_exp_f32_e32 v10, v10                                     // 00000000A1CC: 7E14410A
	v_exp_f32_e32 v11, v11                                     // 00000000A1D0: 7E16410B
	v_pk_fma_f32 v[12:13], v[12:13], s[46:47], v[196:197]      // 00000000A1D4: D3B0400C 1F105D0C
	v_pk_fma_f32 v[14:15], v[14:15], s[46:47], v[196:197]      // 00000000A1DC: D3B0400E 1F105D0E
	v_exp_f32_e32 v12, v12                                     // 00000000A1E4: 7E18410C
	v_exp_f32_e32 v13, v13                                     // 00000000A1E8: 7E1A410D
	v_exp_f32_e32 v14, v14                                     // 00000000A1EC: 7E1C410E
	v_exp_f32_e32 v15, v15                                     // 00000000A1F0: 7E1E410F
	v_pk_fma_f32 v[16:17], v[16:17], s[46:47], v[196:197]      // 00000000A1F4: D3B04010 1F105D10
	v_pk_fma_f32 v[18:19], v[18:19], s[46:47], v[196:197]      // 00000000A1FC: D3B04012 1F105D12
	v_exp_f32_e32 v16, v16                                     // 00000000A204: 7E204110
	v_exp_f32_e32 v17, v17                                     // 00000000A208: 7E224111
	v_exp_f32_e32 v18, v18                                     // 00000000A20C: 7E244112
	v_exp_f32_e32 v19, v19                                     // 00000000A210: 7E264113
	v_max_f32_e32 v157, v177, v153                             // 00000000A214: 173B33B1
	v_mul_f32_e64 v196, -s46, v157                             // 00000000A218: D10500C4 20033A2E
	v_mov_b32_e32 v197, v196                                   // 00000000A220: 7F8A03C4
	v_pk_fma_f32 v[20:21], v[20:21], s[46:47], v[196:197]      // 00000000A224: D3B04014 1F105D14
	v_pk_fma_f32 v[22:23], v[22:23], s[46:47], v[196:197]      // 00000000A22C: D3B04016 1F105D16
	v_exp_f32_e32 v20, v20                                     // 00000000A234: 7E284114
	v_exp_f32_e32 v21, v21                                     // 00000000A238: 7E2A4115
	v_exp_f32_e32 v22, v22                                     // 00000000A23C: 7E2C4116
	v_exp_f32_e32 v23, v23                                     // 00000000A240: 7E2E4117
	v_pk_fma_f32 v[24:25], v[24:25], s[46:47], v[196:197]      // 00000000A244: D3B04018 1F105D18
	v_pk_fma_f32 v[26:27], v[26:27], s[46:47], v[196:197]      // 00000000A24C: D3B0401A 1F105D1A
	v_exp_f32_e32 v24, v24                                     // 00000000A254: 7E304118
	v_exp_f32_e32 v25, v25                                     // 00000000A258: 7E324119
	v_exp_f32_e32 v26, v26                                     // 00000000A25C: 7E34411A
	v_exp_f32_e32 v27, v27                                     // 00000000A260: 7E36411B
	v_pk_fma_f32 v[28:29], v[28:29], s[46:47], v[196:197]      // 00000000A264: D3B0401C 1F105D1C
	v_pk_fma_f32 v[30:31], v[30:31], s[46:47], v[196:197]      // 00000000A26C: D3B0401E 1F105D1E
	v_exp_f32_e32 v28, v28                                     // 00000000A274: 7E38411C
	v_exp_f32_e32 v29, v29                                     // 00000000A278: 7E3A411D
	v_exp_f32_e32 v30, v30                                     // 00000000A27C: 7E3C411E
	v_exp_f32_e32 v31, v31                                     // 00000000A280: 7E3E411F
	v_pk_fma_f32 v[32:33], v[32:33], s[46:47], v[196:197]      // 00000000A284: D3B04020 1F105D20
	v_pk_fma_f32 v[34:35], v[34:35], s[46:47], v[196:197]      // 00000000A28C: D3B04022 1F105D22
	v_exp_f32_e32 v32, v32                                     // 00000000A294: 7E404120
	v_exp_f32_e32 v33, v33                                     // 00000000A298: 7E424121
	v_exp_f32_e32 v34, v34                                     // 00000000A29C: 7E444122
	v_exp_f32_e32 v35, v35                                     // 00000000A2A0: 7E464123
	v_max_f32_e32 v158, v178, v154                             // 00000000A2A4: 173D35B2
	v_mul_f32_e64 v196, -s46, v158                             // 00000000A2A8: D10500C4 20033C2E
	v_mov_b32_e32 v197, v196                                   // 00000000A2B0: 7F8A03C4
	v_pk_fma_f32 v[36:37], v[36:37], s[46:47], v[196:197]      // 00000000A2B4: D3B04024 1F105D24
	v_pk_fma_f32 v[38:39], v[38:39], s[46:47], v[196:197]      // 00000000A2BC: D3B04026 1F105D26
	v_exp_f32_e32 v36, v36                                     // 00000000A2C4: 7E484124
	v_exp_f32_e32 v37, v37                                     // 00000000A2C8: 7E4A4125
	v_exp_f32_e32 v38, v38                                     // 00000000A2CC: 7E4C4126
	v_exp_f32_e32 v39, v39                                     // 00000000A2D0: 7E4E4127
	v_pk_fma_f32 v[40:41], v[40:41], s[46:47], v[196:197]      // 00000000A2D4: D3B04028 1F105D28
	v_pk_fma_f32 v[42:43], v[42:43], s[46:47], v[196:197]      // 00000000A2DC: D3B0402A 1F105D2A
	v_exp_f32_e32 v40, v40                                     // 00000000A2E4: 7E504128
	v_exp_f32_e32 v41, v41                                     // 00000000A2E8: 7E524129
	v_exp_f32_e32 v42, v42                                     // 00000000A2EC: 7E54412A
	v_exp_f32_e32 v43, v43                                     // 00000000A2F0: 7E56412B
	v_pk_fma_f32 v[44:45], v[44:45], s[46:47], v[196:197]      // 00000000A2F4: D3B0402C 1F105D2C
	v_pk_fma_f32 v[46:47], v[46:47], s[46:47], v[196:197]      // 00000000A2FC: D3B0402E 1F105D2E
	v_exp_f32_e32 v44, v44                                     // 00000000A304: 7E58412C
	v_exp_f32_e32 v45, v45                                     // 00000000A308: 7E5A412D
	v_exp_f32_e32 v46, v46                                     // 00000000A30C: 7E5C412E
	v_exp_f32_e32 v47, v47                                     // 00000000A310: 7E5E412F
	v_pk_fma_f32 v[48:49], v[48:49], s[46:47], v[196:197]      // 00000000A314: D3B04030 1F105D30
	v_pk_fma_f32 v[50:51], v[50:51], s[46:47], v[196:197]      // 00000000A31C: D3B04032 1F105D32
	v_exp_f32_e32 v48, v48                                     // 00000000A324: 7E604130
	v_exp_f32_e32 v49, v49                                     // 00000000A328: 7E624131
	v_exp_f32_e32 v50, v50                                     // 00000000A32C: 7E644132
	v_exp_f32_e32 v51, v51                                     // 00000000A330: 7E664133
	v_max_f32_e32 v159, v179, v155                             // 00000000A334: 173F37B3
	v_mul_f32_e64 v196, -s46, v159                             // 00000000A338: D10500C4 20033E2E
	v_mov_b32_e32 v197, v196                                   // 00000000A340: 7F8A03C4
	v_pk_fma_f32 v[52:53], v[52:53], s[46:47], v[196:197]      // 00000000A344: D3B04034 1F105D34
	v_pk_fma_f32 v[54:55], v[54:55], s[46:47], v[196:197]      // 00000000A34C: D3B04036 1F105D36
	v_exp_f32_e32 v52, v52                                     // 00000000A354: 7E684134
	v_exp_f32_e32 v53, v53                                     // 00000000A358: 7E6A4135
	v_exp_f32_e32 v54, v54                                     // 00000000A35C: 7E6C4136
	v_exp_f32_e32 v55, v55                                     // 00000000A360: 7E6E4137
	v_pk_fma_f32 v[56:57], v[56:57], s[46:47], v[196:197]      // 00000000A364: D3B04038 1F105D38
	v_pk_fma_f32 v[58:59], v[58:59], s[46:47], v[196:197]      // 00000000A36C: D3B0403A 1F105D3A
	v_exp_f32_e32 v56, v56                                     // 00000000A374: 7E704138
	v_exp_f32_e32 v57, v57                                     // 00000000A378: 7E724139
	v_exp_f32_e32 v58, v58                                     // 00000000A37C: 7E74413A
	v_exp_f32_e32 v59, v59                                     // 00000000A380: 7E76413B
	v_pk_fma_f32 v[60:61], v[60:61], s[46:47], v[196:197]      // 00000000A384: D3B0403C 1F105D3C
	v_pk_fma_f32 v[62:63], v[62:63], s[46:47], v[196:197]      // 00000000A38C: D3B0403E 1F105D3E
	v_exp_f32_e32 v60, v60                                     // 00000000A394: 7E78413C
	v_exp_f32_e32 v61, v61                                     // 00000000A398: 7E7A413D
	v_exp_f32_e32 v62, v62                                     // 00000000A39C: 7E7C413E
	v_exp_f32_e32 v63, v63                                     // 00000000A3A0: 7E7E413F
	v_pk_fma_f32 v[64:65], v[64:65], s[46:47], v[196:197]      // 00000000A3A4: D3B04040 1F105D40
	v_pk_fma_f32 v[66:67], v[66:67], s[46:47], v[196:197]      // 00000000A3AC: D3B04042 1F105D42
	v_exp_f32_e32 v64, v64                                     // 00000000A3B4: 7E804140
	v_exp_f32_e32 v65, v65                                     // 00000000A3B8: 7E824141
	v_exp_f32_e32 v66, v66                                     // 00000000A3BC: 7E844142
	v_exp_f32_e32 v67, v67                                     // 00000000A3C0: 7E864143
	v_sub_f32_e32 v160, v152, v156                             // 00000000A3C4: 05413998
	v_cmp_eq_u32_e64 s[98:99], v216, v152                      // 00000000A3C8: D0CA0062 000331D8
	v_cndmask_b32_e64 v160, v160, 0, s[98:99]                  // 00000000A3D0: D10000A0 018901A0
	v_mov_b32_e32 v152, v156                                   // 00000000A3D8: 7F30039C
	v_mul_f32_e32 v160, s46, v160                              // 00000000A3DC: 0B41402E
	v_exp_f32_e32 v160, v160                                   // 00000000A3E0: 7F4041A0
	v_sub_f32_e32 v162, v153, v157                             // 00000000A3E4: 05453B99
	v_cmp_eq_u32_e64 s[98:99], v216, v153                      // 00000000A3E8: D0CA0062 000333D8
	v_cndmask_b32_e64 v162, v162, 0, s[98:99]                  // 00000000A3F0: D10000A2 018901A2
	v_mov_b32_e32 v153, v157                                   // 00000000A3F8: 7F32039D
	v_mul_f32_e32 v162, s46, v162                              // 00000000A3FC: 0B45442E
	v_exp_f32_e32 v162, v162                                   // 00000000A400: 7F4441A2
	v_sub_f32_e32 v164, v154, v158                             // 00000000A404: 05493D9A
	v_cmp_eq_u32_e64 s[98:99], v216, v154                      // 00000000A408: D0CA0062 000335D8
	v_cndmask_b32_e64 v164, v164, 0, s[98:99]                  // 00000000A410: D10000A4 018901A4
	v_mov_b32_e32 v154, v158                                   // 00000000A418: 7F34039E
	v_mul_f32_e32 v164, s46, v164                              // 00000000A41C: 0B49482E
	v_exp_f32_e32 v164, v164                                   // 00000000A420: 7F4841A4
	v_sub_f32_e32 v166, v155, v159                             // 00000000A424: 054D3F9B
	v_cmp_eq_u32_e64 s[98:99], v216, v155                      // 00000000A428: D0CA0062 000337D8
	v_cndmask_b32_e64 v166, v166, 0, s[98:99]                  // 00000000A430: D10000A6 018901A6
	v_mov_b32_e32 v155, v159                                   // 00000000A438: 7F36039F
	v_mul_f32_e32 v166, s46, v166                              // 00000000A43C: 0B4D4C2E
	v_exp_f32_e32 v166, v166                                   // 00000000A440: 7F4C41A6
	v_mov_b32_e32 v161, v160                                   // 00000000A444: 7F4203A0
	v_mov_b32_e32 v163, v162                                   // 00000000A448: 7F4603A2
	v_mov_b32_e32 v165, v164                                   // 00000000A44C: 7F4A03A4
	v_mov_b32_e32 v167, v166                                   // 00000000A450: 7F4E03A6
	v_mul_f32_e32 v168, v160, v168                             // 00000000A454: 0B5151A0
	v_mov_b32_e32 v169, 0                                      // 00000000A458: 7F520280
	v_pk_add_f32 v[168:169], v[4:5], v[168:169]                // 00000000A45C: D3B240A8 18035104
	v_pk_add_f32 v[168:169], v[6:7], v[168:169]                // 00000000A464: D3B240A8 18035106
	v_pk_add_f32 v[168:169], v[8:9], v[168:169]                // 00000000A46C: D3B240A8 18035108
	v_pk_add_f32 v[168:169], v[10:11], v[168:169]              // 00000000A474: D3B240A8 1803510A
	v_pk_add_f32 v[168:169], v[12:13], v[168:169]              // 00000000A47C: D3B240A8 1803510C
	v_pk_add_f32 v[168:169], v[14:15], v[168:169]              // 00000000A484: D3B240A8 1803510E
	v_pk_add_f32 v[168:169], v[16:17], v[168:169]              // 00000000A48C: D3B240A8 18035110
	v_pk_add_f32 v[168:169], v[18:19], v[168:169]              // 00000000A494: D3B240A8 18035112
	v_add_f32_e32 v168, v169, v168                             // 00000000A49C: 035151A9
	v_mul_f32_e32 v170, v162, v170                             // 00000000A4A0: 0B5555A2
	v_mov_b32_e32 v171, 0                                      // 00000000A4A4: 7F560280
	v_pk_add_f32 v[170:171], v[20:21], v[170:171]              // 00000000A4A8: D3B240AA 18035514
	v_pk_add_f32 v[170:171], v[22:23], v[170:171]              // 00000000A4B0: D3B240AA 18035516
	v_pk_add_f32 v[170:171], v[24:25], v[170:171]              // 00000000A4B8: D3B240AA 18035518
	v_pk_add_f32 v[170:171], v[26:27], v[170:171]              // 00000000A4C0: D3B240AA 1803551A
	v_pk_add_f32 v[170:171], v[28:29], v[170:171]              // 00000000A4C8: D3B240AA 1803551C
	v_pk_add_f32 v[170:171], v[30:31], v[170:171]              // 00000000A4D0: D3B240AA 1803551E
	v_pk_add_f32 v[170:171], v[32:33], v[170:171]              // 00000000A4D8: D3B240AA 18035520
	v_pk_add_f32 v[170:171], v[34:35], v[170:171]              // 00000000A4E0: D3B240AA 18035522
	v_add_f32_e32 v170, v171, v170                             // 00000000A4E8: 035555AB
	v_mul_f32_e32 v172, v164, v172                             // 00000000A4EC: 0B5959A4
	v_mov_b32_e32 v173, 0                                      // 00000000A4F0: 7F5A0280
	v_pk_add_f32 v[172:173], v[36:37], v[172:173]              // 00000000A4F4: D3B240AC 18035924
	v_pk_add_f32 v[172:173], v[38:39], v[172:173]              // 00000000A4FC: D3B240AC 18035926
	v_pk_add_f32 v[172:173], v[40:41], v[172:173]              // 00000000A504: D3B240AC 18035928
	v_pk_add_f32 v[172:173], v[42:43], v[172:173]              // 00000000A50C: D3B240AC 1803592A
	v_pk_add_f32 v[172:173], v[44:45], v[172:173]              // 00000000A514: D3B240AC 1803592C
	v_pk_add_f32 v[172:173], v[46:47], v[172:173]              // 00000000A51C: D3B240AC 1803592E
	v_pk_add_f32 v[172:173], v[48:49], v[172:173]              // 00000000A524: D3B240AC 18035930
	v_pk_add_f32 v[172:173], v[50:51], v[172:173]              // 00000000A52C: D3B240AC 18035932
	v_add_f32_e32 v172, v173, v172                             // 00000000A534: 035959AD
	v_mul_f32_e32 v174, v166, v174                             // 00000000A538: 0B5D5DA6
	v_mov_b32_e32 v175, 0                                      // 00000000A53C: 7F5E0280
	v_pk_add_f32 v[174:175], v[52:53], v[174:175]              // 00000000A540: D3B240AE 18035D34
	v_pk_add_f32 v[174:175], v[54:55], v[174:175]              // 00000000A548: D3B240AE 18035D36
	v_pk_add_f32 v[174:175], v[56:57], v[174:175]              // 00000000A550: D3B240AE 18035D38
	v_pk_add_f32 v[174:175], v[58:59], v[174:175]              // 00000000A558: D3B240AE 18035D3A
	v_pk_add_f32 v[174:175], v[60:61], v[174:175]              // 00000000A560: D3B240AE 18035D3C
	v_pk_add_f32 v[174:175], v[62:63], v[174:175]              // 00000000A568: D3B240AE 18035D3E
	v_pk_add_f32 v[174:175], v[64:65], v[174:175]              // 00000000A570: D3B240AE 18035D40
	v_pk_add_f32 v[174:175], v[66:67], v[174:175]              // 00000000A578: D3B240AE 18035D42
	v_add_f32_e32 v174, v175, v174                             // 00000000A580: 035D5DAF
	v_mul_f32_dpp v4, v142, v4 row_newbcast:0 row_mask:0xf bank_mask:0xf// 00000000A584: 0A0808FA FF01508E
	v_mul_f32_dpp v5, v142, v5 row_newbcast:1 row_mask:0xf bank_mask:0xf// 00000000A58C: 0A0A0AFA FF01518E
	v_mul_f32_dpp v6, v142, v6 row_newbcast:2 row_mask:0xf bank_mask:0xf// 00000000A594: 0A0C0CFA FF01528E
	v_mul_f32_dpp v7, v142, v7 row_newbcast:3 row_mask:0xf bank_mask:0xf// 00000000A59C: 0A0E0EFA FF01538E
	v_mul_f32_dpp v8, v142, v8 row_newbcast:4 row_mask:0xf bank_mask:0xf// 00000000A5A4: 0A1010FA FF01548E
	v_mul_f32_dpp v9, v142, v9 row_newbcast:5 row_mask:0xf bank_mask:0xf// 00000000A5AC: 0A1212FA FF01558E
	v_mul_f32_dpp v10, v142, v10 row_newbcast:6 row_mask:0xf bank_mask:0xf// 00000000A5B4: 0A1414FA FF01568E
	v_mul_f32_dpp v11, v142, v11 row_newbcast:7 row_mask:0xf bank_mask:0xf// 00000000A5BC: 0A1616FA FF01578E
	v_mul_f32_dpp v12, v142, v12 row_newbcast:8 row_mask:0xf bank_mask:0xf// 00000000A5C4: 0A1818FA FF01588E
	v_mul_f32_dpp v13, v142, v13 row_newbcast:9 row_mask:0xf bank_mask:0xf// 00000000A5CC: 0A1A1AFA FF01598E
	v_mul_f32_dpp v14, v142, v14 row_newbcast:10 row_mask:0xf bank_mask:0xf// 00000000A5D4: 0A1C1CFA FF015A8E
	v_mul_f32_dpp v15, v142, v15 row_newbcast:11 row_mask:0xf bank_mask:0xf// 00000000A5DC: 0A1E1EFA FF015B8E
	v_mul_f32_dpp v16, v142, v16 row_newbcast:12 row_mask:0xf bank_mask:0xf// 00000000A5E4: 0A2020FA FF015C8E
	v_mul_f32_dpp v17, v142, v17 row_newbcast:13 row_mask:0xf bank_mask:0xf// 00000000A5EC: 0A2222FA FF015D8E
	v_mul_f32_dpp v18, v142, v18 row_newbcast:14 row_mask:0xf bank_mask:0xf// 00000000A5F4: 0A2424FA FF015E8E
	v_mul_f32_dpp v19, v142, v19 row_newbcast:15 row_mask:0xf bank_mask:0xf// 00000000A5FC: 0A2626FA FF015F8E
	v_mul_f32_dpp v20, v142, v20 row_newbcast:0 row_mask:0xf bank_mask:0xf// 00000000A604: 0A2828FA FF01508E
	v_mul_f32_dpp v21, v142, v21 row_newbcast:1 row_mask:0xf bank_mask:0xf// 00000000A60C: 0A2A2AFA FF01518E
	v_mul_f32_dpp v22, v142, v22 row_newbcast:2 row_mask:0xf bank_mask:0xf// 00000000A614: 0A2C2CFA FF01528E
	v_mul_f32_dpp v23, v142, v23 row_newbcast:3 row_mask:0xf bank_mask:0xf// 00000000A61C: 0A2E2EFA FF01538E
	v_mul_f32_dpp v24, v142, v24 row_newbcast:4 row_mask:0xf bank_mask:0xf// 00000000A624: 0A3030FA FF01548E
	v_mul_f32_dpp v25, v142, v25 row_newbcast:5 row_mask:0xf bank_mask:0xf// 00000000A62C: 0A3232FA FF01558E
	v_mul_f32_dpp v26, v142, v26 row_newbcast:6 row_mask:0xf bank_mask:0xf// 00000000A634: 0A3434FA FF01568E
	v_mul_f32_dpp v27, v142, v27 row_newbcast:7 row_mask:0xf bank_mask:0xf// 00000000A63C: 0A3636FA FF01578E
	v_mul_f32_dpp v28, v142, v28 row_newbcast:8 row_mask:0xf bank_mask:0xf// 00000000A644: 0A3838FA FF01588E
	v_mul_f32_dpp v29, v142, v29 row_newbcast:9 row_mask:0xf bank_mask:0xf// 00000000A64C: 0A3A3AFA FF01598E
	v_mul_f32_dpp v30, v142, v30 row_newbcast:10 row_mask:0xf bank_mask:0xf// 00000000A654: 0A3C3CFA FF015A8E
	v_mul_f32_dpp v31, v142, v31 row_newbcast:11 row_mask:0xf bank_mask:0xf// 00000000A65C: 0A3E3EFA FF015B8E
	v_mul_f32_dpp v32, v142, v32 row_newbcast:12 row_mask:0xf bank_mask:0xf// 00000000A664: 0A4040FA FF015C8E
	v_mul_f32_dpp v33, v142, v33 row_newbcast:13 row_mask:0xf bank_mask:0xf// 00000000A66C: 0A4242FA FF015D8E
	v_mul_f32_dpp v34, v142, v34 row_newbcast:14 row_mask:0xf bank_mask:0xf// 00000000A674: 0A4444FA FF015E8E
	v_mul_f32_dpp v35, v142, v35 row_newbcast:15 row_mask:0xf bank_mask:0xf// 00000000A67C: 0A4646FA FF015F8E
	v_mul_f32_dpp v36, v142, v36 row_newbcast:0 row_mask:0xf bank_mask:0xf// 00000000A684: 0A4848FA FF01508E
	v_mul_f32_dpp v37, v142, v37 row_newbcast:1 row_mask:0xf bank_mask:0xf// 00000000A68C: 0A4A4AFA FF01518E
	v_mul_f32_dpp v38, v142, v38 row_newbcast:2 row_mask:0xf bank_mask:0xf// 00000000A694: 0A4C4CFA FF01528E
	v_mul_f32_dpp v39, v142, v39 row_newbcast:3 row_mask:0xf bank_mask:0xf// 00000000A69C: 0A4E4EFA FF01538E
	v_mul_f32_dpp v40, v142, v40 row_newbcast:4 row_mask:0xf bank_mask:0xf// 00000000A6A4: 0A5050FA FF01548E
	v_mul_f32_dpp v41, v142, v41 row_newbcast:5 row_mask:0xf bank_mask:0xf// 00000000A6AC: 0A5252FA FF01558E
	v_mul_f32_dpp v42, v142, v42 row_newbcast:6 row_mask:0xf bank_mask:0xf// 00000000A6B4: 0A5454FA FF01568E
	v_mul_f32_dpp v43, v142, v43 row_newbcast:7 row_mask:0xf bank_mask:0xf// 00000000A6BC: 0A5656FA FF01578E
	v_mul_f32_dpp v44, v142, v44 row_newbcast:8 row_mask:0xf bank_mask:0xf// 00000000A6C4: 0A5858FA FF01588E
	v_mul_f32_dpp v45, v142, v45 row_newbcast:9 row_mask:0xf bank_mask:0xf// 00000000A6CC: 0A5A5AFA FF01598E
	v_mul_f32_dpp v46, v142, v46 row_newbcast:10 row_mask:0xf bank_mask:0xf// 00000000A6D4: 0A5C5CFA FF015A8E
	v_mul_f32_dpp v47, v142, v47 row_newbcast:11 row_mask:0xf bank_mask:0xf// 00000000A6DC: 0A5E5EFA FF015B8E
	v_mul_f32_dpp v48, v142, v48 row_newbcast:12 row_mask:0xf bank_mask:0xf// 00000000A6E4: 0A6060FA FF015C8E
	v_mul_f32_dpp v49, v142, v49 row_newbcast:13 row_mask:0xf bank_mask:0xf// 00000000A6EC: 0A6262FA FF015D8E
	v_mul_f32_dpp v50, v142, v50 row_newbcast:14 row_mask:0xf bank_mask:0xf// 00000000A6F4: 0A6464FA FF015E8E
	v_mul_f32_dpp v51, v142, v51 row_newbcast:15 row_mask:0xf bank_mask:0xf// 00000000A6FC: 0A6666FA FF015F8E
	v_mul_f32_dpp v52, v142, v52 row_newbcast:0 row_mask:0xf bank_mask:0xf// 00000000A704: 0A6868FA FF01508E
	v_mul_f32_dpp v53, v142, v53 row_newbcast:1 row_mask:0xf bank_mask:0xf// 00000000A70C: 0A6A6AFA FF01518E
	v_mul_f32_dpp v54, v142, v54 row_newbcast:2 row_mask:0xf bank_mask:0xf// 00000000A714: 0A6C6CFA FF01528E
	v_mul_f32_dpp v55, v142, v55 row_newbcast:3 row_mask:0xf bank_mask:0xf// 00000000A71C: 0A6E6EFA FF01538E
	v_mul_f32_dpp v56, v142, v56 row_newbcast:4 row_mask:0xf bank_mask:0xf// 00000000A724: 0A7070FA FF01548E
	v_mul_f32_dpp v57, v142, v57 row_newbcast:5 row_mask:0xf bank_mask:0xf// 00000000A72C: 0A7272FA FF01558E
	v_mul_f32_dpp v58, v142, v58 row_newbcast:6 row_mask:0xf bank_mask:0xf// 00000000A734: 0A7474FA FF01568E
	v_mul_f32_dpp v59, v142, v59 row_newbcast:7 row_mask:0xf bank_mask:0xf// 00000000A73C: 0A7676FA FF01578E
	v_mul_f32_dpp v60, v142, v60 row_newbcast:8 row_mask:0xf bank_mask:0xf// 00000000A744: 0A7878FA FF01588E
	v_mul_f32_dpp v61, v142, v61 row_newbcast:9 row_mask:0xf bank_mask:0xf// 00000000A74C: 0A7A7AFA FF01598E
	v_mul_f32_dpp v62, v142, v62 row_newbcast:10 row_mask:0xf bank_mask:0xf// 00000000A754: 0A7C7CFA FF015A8E
	v_mul_f32_dpp v63, v142, v63 row_newbcast:11 row_mask:0xf bank_mask:0xf// 00000000A75C: 0A7E7EFA FF015B8E
	v_mul_f32_dpp v64, v142, v64 row_newbcast:12 row_mask:0xf bank_mask:0xf// 00000000A764: 0A8080FA FF015C8E
	v_mul_f32_dpp v65, v142, v65 row_newbcast:13 row_mask:0xf bank_mask:0xf// 00000000A76C: 0A8282FA FF015D8E
	v_mul_f32_dpp v66, v142, v66 row_newbcast:14 row_mask:0xf bank_mask:0xf// 00000000A774: 0A8484FA FF015E8E
	v_mul_f32_dpp v67, v142, v67 row_newbcast:15 row_mask:0xf bank_mask:0xf// 00000000A77C: 0A8686FA FF015F8E
	v_mov_b32_e32 v176, 0x358637bd                             // 00000000A784: 7F6002FF 358637BD
	v_max3_f32 v176, |v4|, |v5|, v176                          // 00000000A78C: D1D303B0 06C20B04
	v_max3_f32 v176, |v6|, |v7|, v176                          // 00000000A794: D1D303B0 06C20F06
	v_max3_f32 v176, |v8|, |v9|, v176                          // 00000000A79C: D1D303B0 06C21308
	v_max3_f32 v176, |v10|, |v11|, v176                        // 00000000A7A4: D1D303B0 06C2170A
	v_max3_f32 v176, |v12|, |v13|, v176                        // 00000000A7AC: D1D303B0 06C21B0C
	v_max3_f32 v176, |v14|, |v15|, v176                        // 00000000A7B4: D1D303B0 06C21F0E
	v_max3_f32 v176, |v16|, |v17|, v176                        // 00000000A7BC: D1D303B0 06C22310
	v_max3_f32 v176, |v18|, |v19|, v176                        // 00000000A7C4: D1D303B0 06C22712
	v_mov_b32_e32 v177, 0x358637bd                             // 00000000A7CC: 7F6202FF 358637BD
	v_max3_f32 v177, |v20|, |v21|, v177                        // 00000000A7D4: D1D303B1 06C62B14
	v_max3_f32 v177, |v22|, |v23|, v177                        // 00000000A7DC: D1D303B1 06C62F16
	v_max3_f32 v177, |v24|, |v25|, v177                        // 00000000A7E4: D1D303B1 06C63318
	v_max3_f32 v177, |v26|, |v27|, v177                        // 00000000A7EC: D1D303B1 06C6371A
	v_max3_f32 v177, |v28|, |v29|, v177                        // 00000000A7F4: D1D303B1 06C63B1C
	v_max3_f32 v177, |v30|, |v31|, v177                        // 00000000A7FC: D1D303B1 06C63F1E
	v_max3_f32 v177, |v32|, |v33|, v177                        // 00000000A804: D1D303B1 06C64320
	v_max3_f32 v177, |v34|, |v35|, v177                        // 00000000A80C: D1D303B1 06C64722
	v_mov_b32_e32 v178, 0x358637bd                             // 00000000A814: 7F6402FF 358637BD
	v_max3_f32 v178, |v36|, |v37|, v178                        // 00000000A81C: D1D303B2 06CA4B24
	v_max3_f32 v178, |v38|, |v39|, v178                        // 00000000A824: D1D303B2 06CA4F26
	v_max3_f32 v178, |v40|, |v41|, v178                        // 00000000A82C: D1D303B2 06CA5328
	v_max3_f32 v178, |v42|, |v43|, v178                        // 00000000A834: D1D303B2 06CA572A
	v_max3_f32 v178, |v44|, |v45|, v178                        // 00000000A83C: D1D303B2 06CA5B2C
	v_max3_f32 v178, |v46|, |v47|, v178                        // 00000000A844: D1D303B2 06CA5F2E
	v_max3_f32 v178, |v48|, |v49|, v178                        // 00000000A84C: D1D303B2 06CA6330
	v_max3_f32 v178, |v50|, |v51|, v178                        // 00000000A854: D1D303B2 06CA6732
	v_mov_b32_e32 v179, 0x358637bd                             // 00000000A85C: 7F6602FF 358637BD
	v_max3_f32 v179, |v52|, |v53|, v179                        // 00000000A864: D1D303B3 06CE6B34
	v_max3_f32 v179, |v54|, |v55|, v179                        // 00000000A86C: D1D303B3 06CE6F36
	v_max3_f32 v179, |v56|, |v57|, v179                        // 00000000A874: D1D303B3 06CE7338
	v_max3_f32 v179, |v58|, |v59|, v179                        // 00000000A87C: D1D303B3 06CE773A
	v_max3_f32 v179, |v60|, |v61|, v179                        // 00000000A884: D1D303B3 06CE7B3C
	v_max3_f32 v179, |v62|, |v63|, v179                        // 00000000A88C: D1D303B3 06CE7F3E
	v_max3_f32 v179, |v64|, |v65|, v179                        // 00000000A894: D1D303B3 06CE8340
	v_max3_f32 v179, |v66|, |v67|, v179                        // 00000000A89C: D1D303B3 06CE8742
	ds_bpermute_b32 v180, v200, v176                           // 00000000A8A4: D87E0000 B400B0C8
	ds_bpermute_b32 v181, v201, v176                           // 00000000A8AC: D87E0000 B500B0C9
	ds_bpermute_b32 v182, v202, v176                           // 00000000A8B4: D87E0000 B600B0CA
	ds_bpermute_b32 v183, v200, v177                           // 00000000A8BC: D87E0000 B700B1C8
	ds_bpermute_b32 v184, v201, v177                           // 00000000A8C4: D87E0000 B800B1C9
	ds_bpermute_b32 v185, v202, v177                           // 00000000A8CC: D87E0000 B900B1CA
	ds_bpermute_b32 v186, v200, v178                           // 00000000A8D4: D87E0000 BA00B2C8
	ds_bpermute_b32 v187, v201, v178                           // 00000000A8DC: D87E0000 BB00B2C9
	ds_bpermute_b32 v188, v202, v178                           // 00000000A8E4: D87E0000 BC00B2CA
	ds_bpermute_b32 v189, v200, v179                           // 00000000A8EC: D87E0000 BD00B3C8
	ds_bpermute_b32 v190, v201, v179                           // 00000000A8F4: D87E0000 BE00B3C9
	ds_bpermute_b32 v191, v202, v179                           // 00000000A8FC: D87E0000 BF00B3CA
	s_waitcnt lgkmcnt(9)                                       // 00000000A904: BF8CC97F
	v_max3_f32 v176, v180, v181, v176                          // 00000000A908: D1D300B0 06C36BB4
	v_max_f32_e32 v176, v182, v176                             // 00000000A910: 176161B6
	s_waitcnt lgkmcnt(6)                                       // 00000000A914: BF8CC67F
	v_max3_f32 v177, v183, v184, v177                          // 00000000A918: D1D300B1 06C771B7
	v_max_f32_e32 v177, v185, v177                             // 00000000A920: 176363B9
	s_waitcnt lgkmcnt(3)                                       // 00000000A924: BF8CC37F
	v_max3_f32 v178, v186, v187, v178                          // 00000000A928: D1D300B2 06CB77BA
	v_max_f32_e32 v178, v188, v178                             // 00000000A930: 176565BC
	s_waitcnt lgkmcnt(0)                                       // 00000000A934: BF8CC07F
	v_max3_f32 v179, v189, v190, v179                          // 00000000A938: D1D300B3 06CF7DBD
	v_max_f32_e32 v179, v191, v179                             // 00000000A940: 176767BF
	ds_write_b128 v247, v[176:179] offset:4096                 // 00000000A944: D9BE1000 0000B0F7
	buffer_load_dword v141, v231, s[20:23], 0 offen            // 00000000A94C: E0501000 80058DE7
	s_waitcnt lgkmcnt(0)                                       // 00000000A954: BF8CC07F
	s_barrier                                                  // 00000000A958: BF8A0000
	buffer_load_dword v143, v232, s[24:27], 0 offen            // 00000000A95C: E0501000 80068FE8
	ds_read_b128 v[180:183], v248 offset:4096                  // 00000000A964: D9FE1000 B40000F8
	ds_read_b128 v[184:187], v248 offset:4352                  // 00000000A96C: D9FE1100 B80000F8
	ds_read_b128 v[188:191], v248 offset:4608                  // 00000000A974: D9FE1200 BC0000F8
	ds_read_b128 v[192:195], v248 offset:4864                  // 00000000A97C: D9FE1300 C00000F8
	s_waitcnt lgkmcnt(0)                                       // 00000000A984: BF8CC07F
	v_max3_f32 v176, v180, v184, v176                          // 00000000A988: D1D300B0 06C371B4
	v_max3_f32 v177, v181, v185, v177                          // 00000000A990: D1D300B1 06C773B5
	v_max3_f32 v178, v182, v186, v178                          // 00000000A998: D1D300B2 06CB75B6
	v_max3_f32 v179, v183, v187, v179                          // 00000000A9A0: D1D300B3 06CF77B7
	v_max3_f32 v176, v188, v192, v176                          // 00000000A9A8: D1D300B0 06C381BC
	v_max3_f32 v177, v189, v193, v177                          // 00000000A9B0: D1D300B1 06C783BD
	v_max3_f32 v178, v190, v194, v178                          // 00000000A9B8: D1D300B2 06CB85BE
	v_max3_f32 v179, v191, v195, v179                          // 00000000A9C0: D1D300B3 06CF87BF
	v_rcp_f32_e32 v176, v176                                   // 00000000A9C8: 7F6045B0
	v_rcp_f32_e32 v177, v177                                   // 00000000A9CC: 7F6245B1
	v_rcp_f32_e32 v178, v178                                   // 00000000A9D0: 7F6445B2
	v_rcp_f32_e32 v179, v179                                   // 00000000A9D4: 7F6645B3
	v_mul_f32_e32 v176, 0x43700000, v176                       // 00000000A9D8: 0B6160FF 43700000
	v_mul_f32_e32 v177, 0x43700000, v177                       // 00000000A9E0: 0B6362FF 43700000
	v_mul_f32_e32 v178, 0x43700000, v178                       // 00000000A9E8: 0B6564FF 43700000
	v_mul_f32_e32 v179, 0x43700000, v179                       // 00000000A9F0: 0B6766FF 43700000
	v_mul_f32_e32 v4, v176, v4                                 // 00000000A9F8: 0A0809B0
	v_mul_f32_e32 v5, v176, v5                                 // 00000000A9FC: 0A0A0BB0
	v_mul_f32_e32 v6, v176, v6                                 // 00000000AA00: 0A0C0DB0
	v_mul_f32_e32 v7, v176, v7                                 // 00000000AA04: 0A0E0FB0
	v_mul_f32_e32 v8, v176, v8                                 // 00000000AA08: 0A1011B0
	v_mul_f32_e32 v9, v176, v9                                 // 00000000AA0C: 0A1213B0
	v_mul_f32_e32 v10, v176, v10                               // 00000000AA10: 0A1415B0
	v_mul_f32_e32 v11, v176, v11                               // 00000000AA14: 0A1617B0
	v_mul_f32_e32 v12, v176, v12                               // 00000000AA18: 0A1819B0
	v_mul_f32_e32 v13, v176, v13                               // 00000000AA1C: 0A1A1BB0
	v_mul_f32_e32 v14, v176, v14                               // 00000000AA20: 0A1C1DB0
	v_mul_f32_e32 v15, v176, v15                               // 00000000AA24: 0A1E1FB0
	v_mul_f32_e32 v16, v176, v16                               // 00000000AA28: 0A2021B0
	v_mul_f32_e32 v17, v176, v17                               // 00000000AA2C: 0A2223B0
	v_mul_f32_e32 v18, v176, v18                               // 00000000AA30: 0A2425B0
	v_mul_f32_e32 v19, v176, v19                               // 00000000AA34: 0A2627B0
	v_mul_f32_e32 v20, v177, v20                               // 00000000AA38: 0A2829B1
	v_mul_f32_e32 v21, v177, v21                               // 00000000AA3C: 0A2A2BB1
	v_mul_f32_e32 v22, v177, v22                               // 00000000AA40: 0A2C2DB1
	v_mul_f32_e32 v23, v177, v23                               // 00000000AA44: 0A2E2FB1
	v_mul_f32_e32 v24, v177, v24                               // 00000000AA48: 0A3031B1
	v_mul_f32_e32 v25, v177, v25                               // 00000000AA4C: 0A3233B1
	v_mul_f32_e32 v26, v177, v26                               // 00000000AA50: 0A3435B1
	v_mul_f32_e32 v27, v177, v27                               // 00000000AA54: 0A3637B1
	v_mul_f32_e32 v28, v177, v28                               // 00000000AA58: 0A3839B1
	v_mul_f32_e32 v29, v177, v29                               // 00000000AA5C: 0A3A3BB1
	v_mul_f32_e32 v30, v177, v30                               // 00000000AA60: 0A3C3DB1
	v_mul_f32_e32 v31, v177, v31                               // 00000000AA64: 0A3E3FB1
	v_mul_f32_e32 v32, v177, v32                               // 00000000AA68: 0A4041B1
	v_mul_f32_e32 v33, v177, v33                               // 00000000AA6C: 0A4243B1
	v_mul_f32_e32 v34, v177, v34                               // 00000000AA70: 0A4445B1
	v_mul_f32_e32 v35, v177, v35                               // 00000000AA74: 0A4647B1
	v_mul_f32_e32 v36, v178, v36                               // 00000000AA78: 0A4849B2
	v_mul_f32_e32 v37, v178, v37                               // 00000000AA7C: 0A4A4BB2
	v_mul_f32_e32 v38, v178, v38                               // 00000000AA80: 0A4C4DB2
	v_mul_f32_e32 v39, v178, v39                               // 00000000AA84: 0A4E4FB2
	v_mul_f32_e32 v40, v178, v40                               // 00000000AA88: 0A5051B2
	v_mul_f32_e32 v41, v178, v41                               // 00000000AA8C: 0A5253B2
	v_mul_f32_e32 v42, v178, v42                               // 00000000AA90: 0A5455B2
	v_mul_f32_e32 v43, v178, v43                               // 00000000AA94: 0A5657B2
	v_mul_f32_e32 v44, v178, v44                               // 00000000AA98: 0A5859B2
	v_mul_f32_e32 v45, v178, v45                               // 00000000AA9C: 0A5A5BB2
	v_mul_f32_e32 v46, v178, v46                               // 00000000AAA0: 0A5C5DB2
	v_mul_f32_e32 v47, v178, v47                               // 00000000AAA4: 0A5E5FB2
	v_mul_f32_e32 v48, v178, v48                               // 00000000AAA8: 0A6061B2
	v_mul_f32_e32 v49, v178, v49                               // 00000000AAAC: 0A6263B2
	v_mul_f32_e32 v50, v178, v50                               // 00000000AAB0: 0A6465B2
	v_mul_f32_e32 v51, v178, v51                               // 00000000AAB4: 0A6667B2
	v_mul_f32_e32 v52, v179, v52                               // 00000000AAB8: 0A6869B3
	v_mul_f32_e32 v53, v179, v53                               // 00000000AABC: 0A6A6BB3
	v_mul_f32_e32 v54, v179, v54                               // 00000000AAC0: 0A6C6DB3
	v_mul_f32_e32 v55, v179, v55                               // 00000000AAC4: 0A6E6FB3
	v_mul_f32_e32 v56, v179, v56                               // 00000000AAC8: 0A7071B3
	v_mul_f32_e32 v57, v179, v57                               // 00000000AACC: 0A7273B3
	v_mul_f32_e32 v58, v179, v58                               // 00000000AAD0: 0A7475B3
	v_mul_f32_e32 v59, v179, v59                               // 00000000AAD4: 0A7677B3
	v_mul_f32_e32 v60, v179, v60                               // 00000000AAD8: 0A7879B3
	v_mul_f32_e32 v61, v179, v61                               // 00000000AADC: 0A7A7BB3
	v_mul_f32_e32 v62, v179, v62                               // 00000000AAE0: 0A7C7DB3
	v_mul_f32_e32 v63, v179, v63                               // 00000000AAE4: 0A7E7FB3
	v_mul_f32_e32 v64, v179, v64                               // 00000000AAE8: 0A8081B3
	v_mul_f32_e32 v65, v179, v65                               // 00000000AAEC: 0A8283B3
	v_mul_f32_e32 v66, v179, v66                               // 00000000AAF0: 0A8485B3
	v_mul_f32_e32 v67, v179, v67                               // 00000000AAF4: 0A8687B3
	v_cvt_pk_fp8_f32 v4, v4, v5                                // 00000000AAF8: D2A20004 00020B04
	v_cvt_pk_fp8_f32 v4, v6, v7 op_sel:[0,0,1]                 // 00000000AB00: D2A24004 00020F06
	v_cvt_pk_fp8_f32 v5, v8, v9                                // 00000000AB08: D2A20005 00021308
	v_cvt_pk_fp8_f32 v5, v10, v11 op_sel:[0,0,1]               // 00000000AB10: D2A24005 0002170A
	v_cvt_pk_fp8_f32 v6, v12, v13                              // 00000000AB18: D2A20006 00021B0C
	v_cvt_pk_fp8_f32 v6, v14, v15 op_sel:[0,0,1]               // 00000000AB20: D2A24006 00021F0E
	v_cvt_pk_fp8_f32 v7, v16, v17                              // 00000000AB28: D2A20007 00022310
	v_cvt_pk_fp8_f32 v7, v18, v19 op_sel:[0,0,1]               // 00000000AB30: D2A24007 00022712
	v_cvt_pk_fp8_f32 v8, v20, v21                              // 00000000AB38: D2A20008 00022B14
	v_cvt_pk_fp8_f32 v8, v22, v23 op_sel:[0,0,1]               // 00000000AB40: D2A24008 00022F16
	v_cvt_pk_fp8_f32 v9, v24, v25                              // 00000000AB48: D2A20009 00023318
	v_cvt_pk_fp8_f32 v9, v26, v27 op_sel:[0,0,1]               // 00000000AB50: D2A24009 0002371A
	v_cvt_pk_fp8_f32 v10, v28, v29                             // 00000000AB58: D2A2000A 00023B1C
	v_cvt_pk_fp8_f32 v10, v30, v31 op_sel:[0,0,1]              // 00000000AB60: D2A2400A 00023F1E
	v_cvt_pk_fp8_f32 v11, v32, v33                             // 00000000AB68: D2A2000B 00024320
	v_cvt_pk_fp8_f32 v11, v34, v35 op_sel:[0,0,1]              // 00000000AB70: D2A2400B 00024722
	v_cvt_pk_fp8_f32 v12, v36, v37                             // 00000000AB78: D2A2000C 00024B24
	v_cvt_pk_fp8_f32 v12, v38, v39 op_sel:[0,0,1]              // 00000000AB80: D2A2400C 00024F26
	v_cvt_pk_fp8_f32 v13, v40, v41                             // 00000000AB88: D2A2000D 00025328
	v_cvt_pk_fp8_f32 v13, v42, v43 op_sel:[0,0,1]              // 00000000AB90: D2A2400D 0002572A
	v_cvt_pk_fp8_f32 v14, v44, v45                             // 00000000AB98: D2A2000E 00025B2C
	v_cvt_pk_fp8_f32 v14, v46, v47 op_sel:[0,0,1]              // 00000000ABA0: D2A2400E 00025F2E
	v_cvt_pk_fp8_f32 v15, v48, v49                             // 00000000ABA8: D2A2000F 00026330
	v_cvt_pk_fp8_f32 v15, v50, v51 op_sel:[0,0,1]              // 00000000ABB0: D2A2400F 00026732
	v_cvt_pk_fp8_f32 v16, v52, v53                             // 00000000ABB8: D2A20010 00026B34
	v_cvt_pk_fp8_f32 v16, v54, v55 op_sel:[0,0,1]              // 00000000ABC0: D2A24010 00026F36
	v_cvt_pk_fp8_f32 v17, v56, v57                             // 00000000ABC8: D2A20011 00027338
	v_cvt_pk_fp8_f32 v17, v58, v59 op_sel:[0,0,1]              // 00000000ABD0: D2A24011 0002773A
	v_cvt_pk_fp8_f32 v18, v60, v61                             // 00000000ABD8: D2A20012 00027B3C
	v_cvt_pk_fp8_f32 v18, v62, v63 op_sel:[0,0,1]              // 00000000ABE0: D2A24012 00027F3E
	v_cvt_pk_fp8_f32 v19, v64, v65                             // 00000000ABE8: D2A20013 00028340
	v_cvt_pk_fp8_f32 v19, v66, v67 op_sel:[0,0,1]              // 00000000ABF0: D2A24013 00028742
	ds_write_b32 v249, v4 offset:8192                          // 00000000ABF8: D81A2000 000004F9
	ds_write_b32 v249, v5 offset:9216                          // 00000000AC00: D81A2400 000005F9
	ds_write_b32 v249, v6 offset:10240                         // 00000000AC08: D81A2800 000006F9
	ds_write_b32 v249, v7 offset:11264                         // 00000000AC10: D81A2C00 000007F9
	ds_write_b32 v249, v8 offset:12288                         // 00000000AC18: D81A3000 000008F9
	ds_write_b32 v249, v9 offset:13312                         // 00000000AC20: D81A3400 000009F9
	ds_write_b32 v249, v10 offset:14336                        // 00000000AC28: D81A3800 00000AF9
	ds_write_b32 v249, v11 offset:15360                        // 00000000AC30: D81A3C00 00000BF9
	ds_write_b32 v249, v12 offset:16384                        // 00000000AC38: D81A4000 00000CF9
	ds_write_b32 v249, v13 offset:17408                        // 00000000AC40: D81A4400 00000DF9
	ds_write_b32 v249, v14 offset:18432                        // 00000000AC48: D81A4800 00000EF9
	ds_write_b32 v249, v15 offset:19456                        // 00000000AC50: D81A4C00 00000FF9
	ds_write_b32 v249, v16 offset:20480                        // 00000000AC58: D81A5000 000010F9
	ds_write_b32 v249, v17 offset:21504                        // 00000000AC60: D81A5400 000011F9
	ds_write_b32 v249, v18 offset:22528                        // 00000000AC68: D81A5800 000012F9
	ds_write_b32 v249, v19 offset:23552                        // 00000000AC70: D81A5C00 000013F9
	v_rcp_f32_e32 v144, v176                                   // 00000000AC78: 7F2045B0
	v_rcp_f32_e32 v146, v177                                   // 00000000AC7C: 7F2445B1
	v_rcp_f32_e32 v148, v178                                   // 00000000AC80: 7F2845B2
	v_rcp_f32_e32 v150, v179                                   // 00000000AC84: 7F2C45B3
	v_mov_b32_e32 v145, v144                                   // 00000000AC88: 7F220390
	v_mov_b32_e32 v147, v146                                   // 00000000AC8C: 7F260392
	v_mov_b32_e32 v149, v148                                   // 00000000AC90: 7F2A0394
	v_mov_b32_e32 v151, v150                                   // 00000000AC94: 7F2E0396
	v_pk_add_f32 v[100:101], v[100:101], v[68:69]              // 00000000AC98: D3B24064 18028964
	v_pk_add_f32 v[102:103], v[102:103], v[70:71]              // 00000000ACA0: D3B24066 18028D66
	v_pk_add_f32 v[104:105], v[104:105], v[72:73]              // 00000000ACA8: D3B24068 18029168
	v_pk_add_f32 v[106:107], v[106:107], v[74:75]              // 00000000ACB0: D3B2406A 1802956A
	v_pk_add_f32 v[108:109], v[108:109], v[76:77]              // 00000000ACB8: D3B2406C 1802996C
	v_pk_add_f32 v[110:111], v[110:111], v[78:79]              // 00000000ACC0: D3B2406E 18029D6E
	v_pk_add_f32 v[112:113], v[112:113], v[80:81]              // 00000000ACC8: D3B24070 1802A170
	v_pk_add_f32 v[114:115], v[114:115], v[82:83]              // 00000000ACD0: D3B24072 1802A572
	v_pk_add_f32 v[116:117], v[116:117], v[84:85]              // 00000000ACD8: D3B24074 1802A974
	v_pk_add_f32 v[118:119], v[118:119], v[86:87]              // 00000000ACE0: D3B24076 1802AD76
	v_pk_add_f32 v[120:121], v[120:121], v[88:89]              // 00000000ACE8: D3B24078 1802B178
	v_pk_add_f32 v[122:123], v[122:123], v[90:91]              // 00000000ACF0: D3B2407A 1802B57A
	v_pk_add_f32 v[124:125], v[124:125], v[92:93]              // 00000000ACF8: D3B2407C 1802B97C
	v_pk_add_f32 v[126:127], v[126:127], v[94:95]              // 00000000AD00: D3B2407E 1802BD7E
	v_pk_add_f32 v[128:129], v[128:129], v[96:97]              // 00000000AD08: D3B24080 1802C180
	v_pk_add_f32 v[130:131], v[130:131], v[98:99]              // 00000000AD10: D3B24082 1802C582
	s_waitcnt lgkmcnt(0)                                       // 00000000AD18: BF8CC07F
	s_barrier                                                  // 00000000AD1C: BF8A0000
	ds_read_b128 v[4:7], v250 offset:8192                      // 00000000AD20: D9FE2000 040000FA
	ds_read_b128 v[8:11], v250 offset:9216                     // 00000000AD28: D9FE2400 080000FA
	ds_read_b128 v[12:15], v250 offset:10240                   // 00000000AD30: D9FE2800 0C0000FA
	ds_read_b128 v[16:19], v250 offset:11264                   // 00000000AD38: D9FE2C00 100000FA
	ds_read_b128 v[20:23], v250 offset:12288                   // 00000000AD40: D9FE3000 140000FA
	ds_read_b128 v[24:27], v250 offset:13312                   // 00000000AD48: D9FE3400 180000FA
	ds_read_b128 v[28:31], v250 offset:14336                   // 00000000AD50: D9FE3800 1C0000FA
	ds_read_b128 v[32:35], v250 offset:15360                   // 00000000AD58: D9FE3C00 200000FA
	ds_read_b128 v[36:39], v250 offset:16384                   // 00000000AD60: D9FE4000 240000FA
	ds_read_b128 v[40:43], v250 offset:17408                   // 00000000AD68: D9FE4400 280000FA
	ds_read_b128 v[44:47], v250 offset:18432                   // 00000000AD70: D9FE4800 2C0000FA
	ds_read_b128 v[48:51], v250 offset:19456                   // 00000000AD78: D9FE4C00 300000FA
	ds_read_b128 v[52:55], v250 offset:20480                   // 00000000AD80: D9FE5000 340000FA
	ds_read_b128 v[56:59], v250 offset:21504                   // 00000000AD88: D9FE5400 380000FA
	ds_read_b128 v[60:63], v250 offset:22528                   // 00000000AD90: D9FE5800 3C0000FA
	ds_read_b128 v[64:67], v250 offset:23552                   // 00000000AD98: D9FE5C00 400000FA
	s_waitcnt vmcnt(10)                                        // 00000000ADA0: BF8C0F7A
	s_waitcnt vmcnt(63) expcnt(7) lgkmcnt(15)                  // 00000000ADA4: BF8CCF7F
	v_mfma_f32_16x16x32_fp8_fp8 v[68:71], a[96:97], v[4:5], 0  // 00000000ADA8: D3F30044 0A020960
	s_lshl_b32 s68, s76, 2                                     // 00000000ADB0: 8E44824C
	v_mfma_f32_16x16x32_fp8_fp8 v[72:75], a[112:113], v[4:5], 0// 00000000ADB4: D3F30048 0A020970
	s_cmp_lt_u32 s76, s77                                      // 00000000ADBC: BF0A4D4C
	s_cselect_b32 s68, s68, 0                                  // 00000000ADC0: 85448044
	v_mfma_f32_16x16x32_fp8_fp8 v[68:71], a[98:99], v[6:7], v[68:71]// 00000000ADC4: D3F30044 0D120D62
	buffer_load_dwordx4 a[128:131], v227, s[16:19], 0 offen    // 00000000ADCC: E05C1000 808480E3
	v_mfma_f32_16x16x32_fp8_fp8 v[72:75], a[114:115], v[6:7], v[72:75]// 00000000ADD4: D3F30048 0D220D72
	s_addk_i32 s76, 0x1                                        // 00000000ADDC: B74C0001
	s_waitcnt lgkmcnt(14)                                      // 00000000ADE0: BF8CCE7F
	v_mfma_f32_16x16x32_fp8_fp8 v[68:71], a[100:101], v[8:9], v[68:71]// 00000000ADE4: D3F30044 0D121164
	v_mfma_f32_16x16x32_fp8_fp8 v[72:75], a[116:117], v[8:9], v[72:75]// 00000000ADEC: D3F30048 0D221174
	v_mfma_f32_16x16x32_fp8_fp8 v[68:71], a[102:103], v[10:11], v[68:71]// 00000000ADF4: D3F30044 0D121566
	buffer_load_dwordx4 a[132:135], v228, s[16:19], 0 offen    // 00000000ADFC: E05C1000 808484E4
	v_mfma_f32_16x16x32_fp8_fp8 v[72:75], a[118:119], v[10:11], v[72:75]// 00000000AE04: D3F30048 0D221576
	s_waitcnt lgkmcnt(13)                                      // 00000000AE0C: BF8CCD7F
	v_mfma_f32_16x16x32_fp8_fp8 v[68:71], a[104:105], v[12:13], v[68:71]// 00000000AE10: D3F30044 0D121968
	v_mfma_f32_16x16x32_fp8_fp8 v[72:75], a[120:121], v[12:13], v[72:75]// 00000000AE18: D3F30048 0D221978
	v_mfma_f32_16x16x32_fp8_fp8 v[68:71], a[106:107], v[14:15], v[68:71]// 00000000AE20: D3F30044 0D121D6A
	buffer_load_dwordx4 a[136:139], v229, s[16:19], 0 offen    // 00000000AE28: E05C1000 808488E5
	v_mfma_f32_16x16x32_fp8_fp8 v[72:75], a[122:123], v[14:15], v[72:75]// 00000000AE30: D3F30048 0D221D7A
	s_waitcnt lgkmcnt(12)                                      // 00000000AE38: BF8CCC7F
	v_mfma_f32_16x16x32_fp8_fp8 v[68:71], a[108:109], v[16:17], v[68:71]// 00000000AE3C: D3F30044 0D12216C
	v_mfma_f32_16x16x32_fp8_fp8 v[72:75], a[124:125], v[16:17], v[72:75]// 00000000AE44: D3F30048 0D22217C
	v_mfma_f32_16x16x32_fp8_fp8 v[68:71], a[110:111], v[18:19], v[68:71]// 00000000AE4C: D3F30044 0D12256E
	buffer_load_dwordx4 a[140:143], v230, s[16:19], 0 offen    // 00000000AE54: E05C1000 80848CE6
	v_mfma_f32_16x16x32_fp8_fp8 v[72:75], a[126:127], v[18:19], v[72:75]// 00000000AE5C: D3F30048 0D22257E
	s_waitcnt lgkmcnt(11)                                      // 00000000AE64: BF8CCB7F
	v_mfma_f32_16x16x32_fp8_fp8 v[76:79], a[96:97], v[20:21], 0// 00000000AE68: D3F3004C 0A022960
	v_mfma_f32_16x16x32_fp8_fp8 v[80:83], a[112:113], v[20:21], 0// 00000000AE70: D3F30050 0A022970
	v_mfma_f32_16x16x32_fp8_fp8 v[76:79], a[98:99], v[22:23], v[76:79]// 00000000AE78: D3F3004C 0D322D62
	buffer_load_dwordx4 a[144:147], v227, s[16:19], 0 offen offset:1024// 00000000AE80: E05C1400 808490E3
	v_mfma_f32_16x16x32_fp8_fp8 v[80:83], a[114:115], v[22:23], v[80:83]// 00000000AE88: D3F30050 0D422D72
	s_waitcnt lgkmcnt(10)                                      // 00000000AE90: BF8CCA7F
	v_mfma_f32_16x16x32_fp8_fp8 v[76:79], a[100:101], v[24:25], v[76:79]// 00000000AE94: D3F3004C 0D323164
	v_mfma_f32_16x16x32_fp8_fp8 v[80:83], a[116:117], v[24:25], v[80:83]// 00000000AE9C: D3F30050 0D423174
	v_mfma_f32_16x16x32_fp8_fp8 v[76:79], a[102:103], v[26:27], v[76:79]// 00000000AEA4: D3F3004C 0D323566
	buffer_load_dwordx4 a[148:151], v228, s[16:19], 0 offen offset:1024// 00000000AEAC: E05C1400 808494E4
	v_mfma_f32_16x16x32_fp8_fp8 v[80:83], a[118:119], v[26:27], v[80:83]// 00000000AEB4: D3F30050 0D423576
	s_waitcnt lgkmcnt(9)                                       // 00000000AEBC: BF8CC97F
	v_mfma_f32_16x16x32_fp8_fp8 v[76:79], a[104:105], v[28:29], v[76:79]// 00000000AEC0: D3F3004C 0D323968
	v_mfma_f32_16x16x32_fp8_fp8 v[80:83], a[120:121], v[28:29], v[80:83]// 00000000AEC8: D3F30050 0D423978
	v_mfma_f32_16x16x32_fp8_fp8 v[76:79], a[106:107], v[30:31], v[76:79]// 00000000AED0: D3F3004C 0D323D6A
	buffer_load_dwordx4 a[152:155], v229, s[16:19], 0 offen offset:1024// 00000000AED8: E05C1400 808498E5
	v_mfma_f32_16x16x32_fp8_fp8 v[80:83], a[122:123], v[30:31], v[80:83]// 00000000AEE0: D3F30050 0D423D7A
	s_waitcnt lgkmcnt(8)                                       // 00000000AEE8: BF8CC87F
	v_mfma_f32_16x16x32_fp8_fp8 v[76:79], a[108:109], v[32:33], v[76:79]// 00000000AEEC: D3F3004C 0D32416C
	v_mfma_f32_16x16x32_fp8_fp8 v[80:83], a[124:125], v[32:33], v[80:83]// 00000000AEF4: D3F30050 0D42417C
	v_mfma_f32_16x16x32_fp8_fp8 v[76:79], a[110:111], v[34:35], v[76:79]// 00000000AEFC: D3F3004C 0D32456E
	buffer_load_dwordx4 a[156:159], v230, s[16:19], 0 offen offset:1024// 00000000AF04: E05C1400 80849CE6
	v_mfma_f32_16x16x32_fp8_fp8 v[80:83], a[126:127], v[34:35], v[80:83]// 00000000AF0C: D3F30050 0D42457E
	s_waitcnt lgkmcnt(7)                                       // 00000000AF14: BF8CC77F
	v_mfma_f32_16x16x32_fp8_fp8 v[84:87], a[96:97], v[36:37], 0// 00000000AF18: D3F30054 0A024960
	v_mfma_f32_16x16x32_fp8_fp8 v[88:91], a[112:113], v[36:37], 0// 00000000AF20: D3F30058 0A024970
	v_mfma_f32_16x16x32_fp8_fp8 v[84:87], a[98:99], v[38:39], v[84:87]// 00000000AF28: D3F30054 0D524D62
	v_mfma_f32_16x16x32_fp8_fp8 v[88:91], a[114:115], v[38:39], v[88:91]// 00000000AF30: D3F30058 0D624D72
	s_waitcnt lgkmcnt(6)                                       // 00000000AF38: BF8CC67F
	v_mfma_f32_16x16x32_fp8_fp8 v[84:87], a[100:101], v[40:41], v[84:87]// 00000000AF3C: D3F30054 0D525164
	v_mfma_f32_16x16x32_fp8_fp8 v[88:91], a[116:117], v[40:41], v[88:91]// 00000000AF44: D3F30058 0D625174
	v_mfma_f32_16x16x32_fp8_fp8 v[84:87], a[102:103], v[42:43], v[84:87]// 00000000AF4C: D3F30054 0D525566
	v_mfma_f32_16x16x32_fp8_fp8 v[88:91], a[118:119], v[42:43], v[88:91]// 00000000AF54: D3F30058 0D625576
	s_waitcnt lgkmcnt(5)                                       // 00000000AF5C: BF8CC57F
	v_mfma_f32_16x16x32_fp8_fp8 v[84:87], a[104:105], v[44:45], v[84:87]// 00000000AF60: D3F30054 0D525968
	v_mfma_f32_16x16x32_fp8_fp8 v[88:91], a[120:121], v[44:45], v[88:91]// 00000000AF68: D3F30058 0D625978
	v_mfma_f32_16x16x32_fp8_fp8 v[84:87], a[106:107], v[46:47], v[84:87]// 00000000AF70: D3F30054 0D525D6A
	v_mfma_f32_16x16x32_fp8_fp8 v[88:91], a[122:123], v[46:47], v[88:91]// 00000000AF78: D3F30058 0D625D7A
	s_waitcnt lgkmcnt(4)                                       // 00000000AF80: BF8CC47F
	v_mfma_f32_16x16x32_fp8_fp8 v[84:87], a[108:109], v[48:49], v[84:87]// 00000000AF84: D3F30054 0D52616C
	v_mfma_f32_16x16x32_fp8_fp8 v[88:91], a[124:125], v[48:49], v[88:91]// 00000000AF8C: D3F30058 0D62617C
	v_mfma_f32_16x16x32_fp8_fp8 v[84:87], a[110:111], v[50:51], v[84:87]// 00000000AF94: D3F30054 0D52656E
	v_mfma_f32_16x16x32_fp8_fp8 v[88:91], a[126:127], v[50:51], v[88:91]// 00000000AF9C: D3F30058 0D62657E
	s_waitcnt lgkmcnt(3)                                       // 00000000AFA4: BF8CC37F
	v_mfma_f32_16x16x32_fp8_fp8 v[92:95], a[96:97], v[52:53], 0// 00000000AFA8: D3F3005C 0A026960
	v_mfma_f32_16x16x32_fp8_fp8 v[96:99], a[112:113], v[52:53], 0// 00000000AFB0: D3F30060 0A026970
	v_mfma_f32_16x16x32_fp8_fp8 v[92:95], a[98:99], v[54:55], v[92:95]// 00000000AFB8: D3F3005C 0D726D62
	v_mfma_f32_16x16x32_fp8_fp8 v[96:99], a[114:115], v[54:55], v[96:99]// 00000000AFC0: D3F30060 0D826D72
	s_waitcnt lgkmcnt(2)                                       // 00000000AFC8: BF8CC27F
	v_mfma_f32_16x16x32_fp8_fp8 v[92:95], a[100:101], v[56:57], v[92:95]// 00000000AFCC: D3F3005C 0D727164
	v_mfma_f32_16x16x32_fp8_fp8 v[96:99], a[116:117], v[56:57], v[96:99]// 00000000AFD4: D3F30060 0D827174
	v_mfma_f32_16x16x32_fp8_fp8 v[92:95], a[102:103], v[58:59], v[92:95]// 00000000AFDC: D3F3005C 0D727566
	v_mfma_f32_16x16x32_fp8_fp8 v[96:99], a[118:119], v[58:59], v[96:99]// 00000000AFE4: D3F30060 0D827576
	s_waitcnt lgkmcnt(1)                                       // 00000000AFEC: BF8CC17F
	v_mfma_f32_16x16x32_fp8_fp8 v[92:95], a[104:105], v[60:61], v[92:95]// 00000000AFF0: D3F3005C 0D727968
	v_mfma_f32_16x16x32_fp8_fp8 v[96:99], a[120:121], v[60:61], v[96:99]// 00000000AFF8: D3F30060 0D827978
	v_mfma_f32_16x16x32_fp8_fp8 v[92:95], a[106:107], v[62:63], v[92:95]// 00000000B000: D3F3005C 0D727D6A
	v_mfma_f32_16x16x32_fp8_fp8 v[96:99], a[122:123], v[62:63], v[96:99]// 00000000B008: D3F30060 0D827D7A
	s_waitcnt lgkmcnt(0)                                       // 00000000B010: BF8CC07F
	v_mfma_f32_16x16x32_fp8_fp8 v[92:95], a[108:109], v[64:65], v[92:95]// 00000000B014: D3F3005C 0D72816C
	v_mfma_f32_16x16x32_fp8_fp8 v[96:99], a[124:125], v[64:65], v[96:99]// 00000000B01C: D3F30060 0D82817C
	v_mfma_f32_16x16x32_fp8_fp8 v[92:95], a[110:111], v[66:67], v[92:95]// 00000000B024: D3F3005C 0D72856E
	v_mfma_f32_16x16x32_fp8_fp8 v[96:99], a[126:127], v[66:67], v[96:99]// 00000000B02C: D3F30060 0D82857E
	s_load_dword s59, s[42:43], s68                            // 00000000B034: C0000ED5 00000044
	s_addk_i32 s64, 0x100                                      // 00000000B03C: B7400100
	s_cmp_lt_i32 s64, s63                                      // 00000000B040: BF043F40
	s_cbranch_scc0 label_3D12                                  // 00000000B044: BF841B00
	s_waitcnt vmcnt(10)                                        // 00000000B048: BF8C0F7A
	v_mfma_f32_16x16x32_fp8_fp8 v[4:7], a[64:65], a[0:1], 0    // 00000000B04C: D3F30004 1A020140
	s_add_u32 s12, s86, s69                                    // 00000000B054: 800C4556
	s_addc_u32 s13, s87, 0                                     // 00000000B058: 820D8057
	v_mfma_f32_16x16x32_fp8_fp8 v[4:7], a[66:67], a[2:3], v[4:7]// 00000000B05C: D3F30004 1C120542
	s_add_u32 s16, s88, s70                                    // 00000000B064: 80104658
	s_addc_u32 s17, s89, 0                                     // 00000000B068: 82118059
	v_mfma_f32_16x16x32_fp8_fp8 v[4:7], a[68:69], a[4:5], v[4:7]// 00000000B06C: D3F30004 1C120944
	buffer_load_dwordx4 a[32:35], v225, s[12:15], 0 offen      // 00000000B074: E05C1000 808320E1
	v_mfma_f32_16x16x32_fp8_fp8 v[4:7], a[70:71], a[6:7], v[4:7]// 00000000B07C: D3F30004 1C120D46
	s_add_u32 s20, s90, s71                                    // 00000000B084: 8014475A
	s_addc_u32 s21, s91, 0                                     // 00000000B088: 8215805B
	v_mfma_f32_16x16x32_fp8_fp8 v[8:11], a[72:73], a[0:1], 0   // 00000000B08C: D3F30008 1A020148
	s_add_u32 s24, s92, s71                                    // 00000000B094: 8018475C
	s_addc_u32 s25, s93, 0                                     // 00000000B098: 8219805D
	v_mfma_f32_16x16x32_fp8_fp8 v[8:11], a[74:75], a[2:3], v[8:11]// 00000000B09C: D3F30008 1C22054A
	s_add_u32 s69, s69, 0x1000                                 // 00000000B0A4: 8045FF45 00001000
	s_add_u32 s70, s70, 0x8000                                 // 00000000B0AC: 8046FF46 00008000
	v_mfma_f32_16x16x32_fp8_fp8 v[8:11], a[76:77], a[4:5], v[8:11]// 00000000B0B4: D3F30008 1C22094C
	buffer_load_dwordx4 a[36:39], v226, s[12:15], 0 offen      // 00000000B0BC: E05C1000 808324E2
	v_mfma_f32_16x16x32_fp8_fp8 v[8:11], a[78:79], a[6:7], v[8:11]// 00000000B0C4: D3F30008 1C220D4E
	s_add_u32 s71, s71, 0x400                                  // 00000000B0CC: 8047FF47 00000400
	v_mfma_f32_16x16x32_fp8_fp8 v[12:15], a[80:81], a[0:1], 0  // 00000000B0D4: D3F3000C 1A020150
	v_mfma_f32_16x16x32_fp8_fp8 v[12:15], a[82:83], a[2:3], v[12:15]// 00000000B0DC: D3F3000C 1C320552
	v_mfma_f32_16x16x32_fp8_fp8 v[12:15], a[84:85], a[4:5], v[12:15]// 00000000B0E4: D3F3000C 1C320954
	buffer_load_dwordx4 a[40:43], v225, s[12:15], 0 offen offset:1024// 00000000B0EC: E05C1400 808328E1
	v_mfma_f32_16x16x32_fp8_fp8 v[12:15], a[86:87], a[6:7], v[12:15]// 00000000B0F4: D3F3000C 1C320D56
	v_mfma_f32_16x16x32_fp8_fp8 v[16:19], a[88:89], a[0:1], 0  // 00000000B0FC: D3F30010 1A020158
	v_mfma_f32_16x16x32_fp8_fp8 v[16:19], a[90:91], a[2:3], v[16:19]// 00000000B104: D3F30010 1C42055A
	v_mfma_f32_16x16x32_fp8_fp8 v[16:19], a[92:93], a[4:5], v[16:19]// 00000000B10C: D3F30010 1C42095C
	buffer_load_dwordx4 a[44:47], v226, s[12:15], 0 offen offset:1024// 00000000B114: E05C1400 80832CE2
	v_mfma_f32_16x16x32_fp8_fp8 v[16:19], a[94:95], a[6:7], v[16:19]// 00000000B11C: D3F30010 1C420D5E
	v_mfma_f32_16x16x32_fp8_fp8 v[20:23], a[64:65], a[8:9], 0  // 00000000B124: D3F30014 1A021140
	v_mfma_f32_16x16x32_fp8_fp8 v[20:23], a[66:67], a[10:11], v[20:23]// 00000000B12C: D3F30014 1C521542
	v_mfma_f32_16x16x32_fp8_fp8 v[20:23], a[68:69], a[12:13], v[20:23]// 00000000B134: D3F30014 1C521944
	buffer_load_dwordx4 a[48:51], v225, s[12:15], 0 offen offset:2048// 00000000B13C: E05C1800 808330E1
	v_mfma_f32_16x16x32_fp8_fp8 v[20:23], a[70:71], a[14:15], v[20:23]// 00000000B144: D3F30014 1C521D46
	v_mfma_f32_16x16x32_fp8_fp8 v[24:27], a[72:73], a[8:9], 0  // 00000000B14C: D3F30018 1A021148
	v_mfma_f32_16x16x32_fp8_fp8 v[24:27], a[74:75], a[10:11], v[24:27]// 00000000B154: D3F30018 1C62154A
	v_mfma_f32_16x16x32_fp8_fp8 v[24:27], a[76:77], a[12:13], v[24:27]// 00000000B15C: D3F30018 1C62194C
	buffer_load_dwordx4 a[52:55], v226, s[12:15], 0 offen offset:2048// 00000000B164: E05C1800 808334E2
	v_mfma_f32_16x16x32_fp8_fp8 v[24:27], a[78:79], a[14:15], v[24:27]// 00000000B16C: D3F30018 1C621D4E
	v_mfma_f32_16x16x32_fp8_fp8 v[28:31], a[80:81], a[8:9], 0  // 00000000B174: D3F3001C 1A021150
	v_mfma_f32_16x16x32_fp8_fp8 v[28:31], a[82:83], a[10:11], v[28:31]// 00000000B17C: D3F3001C 1C721552
	v_mfma_f32_16x16x32_fp8_fp8 v[28:31], a[84:85], a[12:13], v[28:31]// 00000000B184: D3F3001C 1C721954
	buffer_load_dwordx4 a[56:59], v225, s[12:15], 0 offen offset:3072// 00000000B18C: E05C1C00 808338E1
	v_mfma_f32_16x16x32_fp8_fp8 v[28:31], a[86:87], a[14:15], v[28:31]// 00000000B194: D3F3001C 1C721D56
	v_mfma_f32_16x16x32_fp8_fp8 v[32:35], a[88:89], a[8:9], 0  // 00000000B19C: D3F30020 1A021158
	v_mfma_f32_16x16x32_fp8_fp8 v[32:35], a[90:91], a[10:11], v[32:35]// 00000000B1A4: D3F30020 1C82155A
	v_mfma_f32_16x16x32_fp8_fp8 v[32:35], a[92:93], a[12:13], v[32:35]// 00000000B1AC: D3F30020 1C82195C
	buffer_load_dwordx4 a[60:63], v226, s[12:15], 0 offen offset:3072// 00000000B1B4: E05C1C00 80833CE2
	v_mfma_f32_16x16x32_fp8_fp8 v[32:35], a[94:95], a[14:15], v[32:35]// 00000000B1BC: D3F30020 1C821D5E
	v_mfma_f32_16x16x32_fp8_fp8 v[36:39], a[64:65], a[16:17], 0// 00000000B1C4: D3F30024 1A022140
	v_mfma_f32_16x16x32_fp8_fp8 v[36:39], a[66:67], a[18:19], v[36:39]// 00000000B1CC: D3F30024 1C922542
	v_mfma_f32_16x16x32_fp8_fp8 v[36:39], a[68:69], a[20:21], v[36:39]// 00000000B1D4: D3F30024 1C922944
	v_mfma_f32_16x16x32_fp8_fp8 v[36:39], a[70:71], a[22:23], v[36:39]// 00000000B1DC: D3F30024 1C922D46
	v_mfma_f32_16x16x32_fp8_fp8 v[40:43], a[72:73], a[16:17], 0// 00000000B1E4: D3F30028 1A022148
	v_mfma_f32_16x16x32_fp8_fp8 v[40:43], a[74:75], a[18:19], v[40:43]// 00000000B1EC: D3F30028 1CA2254A
	v_mfma_f32_16x16x32_fp8_fp8 v[40:43], a[76:77], a[20:21], v[40:43]// 00000000B1F4: D3F30028 1CA2294C
	v_mfma_f32_16x16x32_fp8_fp8 v[40:43], a[78:79], a[22:23], v[40:43]// 00000000B1FC: D3F30028 1CA22D4E
	v_mfma_f32_16x16x32_fp8_fp8 v[44:47], a[80:81], a[16:17], 0// 00000000B204: D3F3002C 1A022150
	v_mfma_f32_16x16x32_fp8_fp8 v[44:47], a[82:83], a[18:19], v[44:47]// 00000000B20C: D3F3002C 1CB22552
	v_mfma_f32_16x16x32_fp8_fp8 v[44:47], a[84:85], a[20:21], v[44:47]// 00000000B214: D3F3002C 1CB22954
	v_mfma_f32_16x16x32_fp8_fp8 v[44:47], a[86:87], a[22:23], v[44:47]// 00000000B21C: D3F3002C 1CB22D56
	v_mfma_f32_16x16x32_fp8_fp8 v[48:51], a[88:89], a[16:17], 0// 00000000B224: D3F30030 1A022158
	v_mfma_f32_16x16x32_fp8_fp8 v[48:51], a[90:91], a[18:19], v[48:51]// 00000000B22C: D3F30030 1CC2255A
	v_mfma_f32_16x16x32_fp8_fp8 v[48:51], a[92:93], a[20:21], v[48:51]// 00000000B234: D3F30030 1CC2295C
	v_mfma_f32_16x16x32_fp8_fp8 v[48:51], a[94:95], a[22:23], v[48:51]// 00000000B23C: D3F30030 1CC22D5E
	v_mfma_f32_16x16x32_fp8_fp8 v[52:55], a[64:65], a[24:25], 0// 00000000B244: D3F30034 1A023140
	v_mfma_f32_16x16x32_fp8_fp8 v[52:55], a[66:67], a[26:27], v[52:55]// 00000000B24C: D3F30034 1CD23542
	v_mfma_f32_16x16x32_fp8_fp8 v[52:55], a[68:69], a[28:29], v[52:55]// 00000000B254: D3F30034 1CD23944
	v_mfma_f32_16x16x32_fp8_fp8 v[52:55], a[70:71], a[30:31], v[52:55]// 00000000B25C: D3F30034 1CD23D46
	v_mfma_f32_16x16x32_fp8_fp8 v[56:59], a[72:73], a[24:25], 0// 00000000B264: D3F30038 1A023148
	v_mfma_f32_16x16x32_fp8_fp8 v[56:59], a[74:75], a[26:27], v[56:59]// 00000000B26C: D3F30038 1CE2354A
	v_mfma_f32_16x16x32_fp8_fp8 v[56:59], a[76:77], a[28:29], v[56:59]// 00000000B274: D3F30038 1CE2394C
	v_mfma_f32_16x16x32_fp8_fp8 v[56:59], a[78:79], a[30:31], v[56:59]// 00000000B27C: D3F30038 1CE23D4E
	v_mfma_f32_16x16x32_fp8_fp8 v[60:63], a[80:81], a[24:25], 0// 00000000B284: D3F3003C 1A023150
	v_mfma_f32_16x16x32_fp8_fp8 v[60:63], a[82:83], a[26:27], v[60:63]// 00000000B28C: D3F3003C 1CF23552
	v_mfma_f32_16x16x32_fp8_fp8 v[60:63], a[84:85], a[28:29], v[60:63]// 00000000B294: D3F3003C 1CF23954
	v_mfma_f32_16x16x32_fp8_fp8 v[60:63], a[86:87], a[30:31], v[60:63]// 00000000B29C: D3F3003C 1CF23D56
	v_mfma_f32_16x16x32_fp8_fp8 v[64:67], a[88:89], a[24:25], 0// 00000000B2A4: D3F30040 1A023158
	v_mfma_f32_16x16x32_fp8_fp8 v[64:67], a[90:91], a[26:27], v[64:67]// 00000000B2AC: D3F30040 1D02355A
	v_mfma_f32_16x16x32_fp8_fp8 v[64:67], a[92:93], a[28:29], v[64:67]// 00000000B2B4: D3F30040 1D02395C
	v_mfma_f32_16x16x32_fp8_fp8 v[64:67], a[94:95], a[30:31], v[64:67]// 00000000B2BC: D3F30040 1D023D5E
	s_waitcnt vmcnt(16)                                        // 00000000B2C4: BF8C4F70
	v_pk_mul_f32 v[4:5], v[132:133], v[4:5]                    // 00000000B2C8: D3B14004 18020984
	v_pk_mul_f32 v[6:7], v[132:133], v[6:7]                    // 00000000B2D0: D3B14006 18020D84
	v_mul_f32_dpp v4, v141, v4 row_newbcast:0 row_mask:0xf bank_mask:0xf// 00000000B2D8: 0A0808FA FF01508D
	v_mul_f32_dpp v5, v141, v5 row_newbcast:1 row_mask:0xf bank_mask:0xf// 00000000B2E0: 0A0A0AFA FF01518D
	v_mul_f32_dpp v6, v141, v6 row_newbcast:2 row_mask:0xf bank_mask:0xf// 00000000B2E8: 0A0C0CFA FF01528D
	v_mul_f32_dpp v7, v141, v7 row_newbcast:3 row_mask:0xf bank_mask:0xf// 00000000B2F0: 0A0E0EFA FF01538D
	v_pk_mul_f32 v[8:9], v[132:133], v[8:9]                    // 00000000B2F8: D3B14008 18021184
	v_pk_mul_f32 v[10:11], v[132:133], v[10:11]                // 00000000B300: D3B1400A 18021584
	v_mul_f32_dpp v8, v141, v8 row_newbcast:4 row_mask:0xf bank_mask:0xf// 00000000B308: 0A1010FA FF01548D
	v_mul_f32_dpp v9, v141, v9 row_newbcast:5 row_mask:0xf bank_mask:0xf// 00000000B310: 0A1212FA FF01558D
	v_mul_f32_dpp v10, v141, v10 row_newbcast:6 row_mask:0xf bank_mask:0xf// 00000000B318: 0A1414FA FF01568D
	v_mul_f32_dpp v11, v141, v11 row_newbcast:7 row_mask:0xf bank_mask:0xf// 00000000B320: 0A1616FA FF01578D
	v_pk_mul_f32 v[12:13], v[132:133], v[12:13]                // 00000000B328: D3B1400C 18021984
	v_pk_mul_f32 v[14:15], v[132:133], v[14:15]                // 00000000B330: D3B1400E 18021D84
	v_mul_f32_dpp v12, v141, v12 row_newbcast:8 row_mask:0xf bank_mask:0xf// 00000000B338: 0A1818FA FF01588D
	v_mul_f32_dpp v13, v141, v13 row_newbcast:9 row_mask:0xf bank_mask:0xf// 00000000B340: 0A1A1AFA FF01598D
	v_mul_f32_dpp v14, v141, v14 row_newbcast:10 row_mask:0xf bank_mask:0xf// 00000000B348: 0A1C1CFA FF015A8D
	v_mul_f32_dpp v15, v141, v15 row_newbcast:11 row_mask:0xf bank_mask:0xf// 00000000B350: 0A1E1EFA FF015B8D
	v_pk_mul_f32 v[16:17], v[132:133], v[16:17]                // 00000000B358: D3B14010 18022184
	v_pk_mul_f32 v[18:19], v[132:133], v[18:19]                // 00000000B360: D3B14012 18022584
	v_mul_f32_dpp v16, v141, v16 row_newbcast:12 row_mask:0xf bank_mask:0xf// 00000000B368: 0A2020FA FF015C8D
	v_mul_f32_dpp v17, v141, v17 row_newbcast:13 row_mask:0xf bank_mask:0xf// 00000000B370: 0A2222FA FF015D8D
	v_mul_f32_dpp v18, v141, v18 row_newbcast:14 row_mask:0xf bank_mask:0xf// 00000000B378: 0A2424FA FF015E8D
	v_mul_f32_dpp v19, v141, v19 row_newbcast:15 row_mask:0xf bank_mask:0xf// 00000000B380: 0A2626FA FF015F8D
	v_pk_mul_f32 v[20:21], v[134:135], v[20:21]                // 00000000B388: D3B14014 18022986
	v_pk_mul_f32 v[22:23], v[134:135], v[22:23]                // 00000000B390: D3B14016 18022D86
	v_mul_f32_dpp v20, v141, v20 row_newbcast:0 row_mask:0xf bank_mask:0xf// 00000000B398: 0A2828FA FF01508D
	v_mul_f32_dpp v21, v141, v21 row_newbcast:1 row_mask:0xf bank_mask:0xf// 00000000B3A0: 0A2A2AFA FF01518D
	v_mul_f32_dpp v22, v141, v22 row_newbcast:2 row_mask:0xf bank_mask:0xf// 00000000B3A8: 0A2C2CFA FF01528D
	v_mul_f32_dpp v23, v141, v23 row_newbcast:3 row_mask:0xf bank_mask:0xf// 00000000B3B0: 0A2E2EFA FF01538D
	v_pk_mul_f32 v[24:25], v[134:135], v[24:25]                // 00000000B3B8: D3B14018 18023186
	v_pk_mul_f32 v[26:27], v[134:135], v[26:27]                // 00000000B3C0: D3B1401A 18023586
	v_mul_f32_dpp v24, v141, v24 row_newbcast:4 row_mask:0xf bank_mask:0xf// 00000000B3C8: 0A3030FA FF01548D
	v_mul_f32_dpp v25, v141, v25 row_newbcast:5 row_mask:0xf bank_mask:0xf// 00000000B3D0: 0A3232FA FF01558D
	v_mul_f32_dpp v26, v141, v26 row_newbcast:6 row_mask:0xf bank_mask:0xf// 00000000B3D8: 0A3434FA FF01568D
	v_mul_f32_dpp v27, v141, v27 row_newbcast:7 row_mask:0xf bank_mask:0xf// 00000000B3E0: 0A3636FA FF01578D
	v_pk_mul_f32 v[28:29], v[134:135], v[28:29]                // 00000000B3E8: D3B1401C 18023986
	v_pk_mul_f32 v[30:31], v[134:135], v[30:31]                // 00000000B3F0: D3B1401E 18023D86
	v_mul_f32_dpp v28, v141, v28 row_newbcast:8 row_mask:0xf bank_mask:0xf// 00000000B3F8: 0A3838FA FF01588D
	v_mul_f32_dpp v29, v141, v29 row_newbcast:9 row_mask:0xf bank_mask:0xf// 00000000B400: 0A3A3AFA FF01598D
	v_mul_f32_dpp v30, v141, v30 row_newbcast:10 row_mask:0xf bank_mask:0xf// 00000000B408: 0A3C3CFA FF015A8D
	v_mul_f32_dpp v31, v141, v31 row_newbcast:11 row_mask:0xf bank_mask:0xf// 00000000B410: 0A3E3EFA FF015B8D
	v_pk_mul_f32 v[32:33], v[134:135], v[32:33]                // 00000000B418: D3B14020 18024186
	v_pk_mul_f32 v[34:35], v[134:135], v[34:35]                // 00000000B420: D3B14022 18024586
	v_mul_f32_dpp v32, v141, v32 row_newbcast:12 row_mask:0xf bank_mask:0xf// 00000000B428: 0A4040FA FF015C8D
	v_mul_f32_dpp v33, v141, v33 row_newbcast:13 row_mask:0xf bank_mask:0xf// 00000000B430: 0A4242FA FF015D8D
	v_mul_f32_dpp v34, v141, v34 row_newbcast:14 row_mask:0xf bank_mask:0xf// 00000000B438: 0A4444FA FF015E8D
	v_mul_f32_dpp v35, v141, v35 row_newbcast:15 row_mask:0xf bank_mask:0xf// 00000000B440: 0A4646FA FF015F8D
	v_pk_mul_f32 v[36:37], v[136:137], v[36:37]                // 00000000B448: D3B14024 18024988
	v_pk_mul_f32 v[38:39], v[136:137], v[38:39]                // 00000000B450: D3B14026 18024D88
	v_mul_f32_dpp v36, v141, v36 row_newbcast:0 row_mask:0xf bank_mask:0xf// 00000000B458: 0A4848FA FF01508D
	v_mul_f32_dpp v37, v141, v37 row_newbcast:1 row_mask:0xf bank_mask:0xf// 00000000B460: 0A4A4AFA FF01518D
	v_mul_f32_dpp v38, v141, v38 row_newbcast:2 row_mask:0xf bank_mask:0xf// 00000000B468: 0A4C4CFA FF01528D
	v_mul_f32_dpp v39, v141, v39 row_newbcast:3 row_mask:0xf bank_mask:0xf// 00000000B470: 0A4E4EFA FF01538D
	v_pk_mul_f32 v[40:41], v[136:137], v[40:41]                // 00000000B478: D3B14028 18025188
	v_pk_mul_f32 v[42:43], v[136:137], v[42:43]                // 00000000B480: D3B1402A 18025588
	v_mul_f32_dpp v40, v141, v40 row_newbcast:4 row_mask:0xf bank_mask:0xf// 00000000B488: 0A5050FA FF01548D
	v_mul_f32_dpp v41, v141, v41 row_newbcast:5 row_mask:0xf bank_mask:0xf// 00000000B490: 0A5252FA FF01558D
	v_mul_f32_dpp v42, v141, v42 row_newbcast:6 row_mask:0xf bank_mask:0xf// 00000000B498: 0A5454FA FF01568D
	v_mul_f32_dpp v43, v141, v43 row_newbcast:7 row_mask:0xf bank_mask:0xf// 00000000B4A0: 0A5656FA FF01578D
	v_pk_mul_f32 v[44:45], v[136:137], v[44:45]                // 00000000B4A8: D3B1402C 18025988
	v_pk_mul_f32 v[46:47], v[136:137], v[46:47]                // 00000000B4B0: D3B1402E 18025D88
	v_mul_f32_dpp v44, v141, v44 row_newbcast:8 row_mask:0xf bank_mask:0xf// 00000000B4B8: 0A5858FA FF01588D
	v_mul_f32_dpp v45, v141, v45 row_newbcast:9 row_mask:0xf bank_mask:0xf// 00000000B4C0: 0A5A5AFA FF01598D
	v_mul_f32_dpp v46, v141, v46 row_newbcast:10 row_mask:0xf bank_mask:0xf// 00000000B4C8: 0A5C5CFA FF015A8D
	v_mul_f32_dpp v47, v141, v47 row_newbcast:11 row_mask:0xf bank_mask:0xf// 00000000B4D0: 0A5E5EFA FF015B8D
	v_pk_mul_f32 v[48:49], v[136:137], v[48:49]                // 00000000B4D8: D3B14030 18026188
	v_pk_mul_f32 v[50:51], v[136:137], v[50:51]                // 00000000B4E0: D3B14032 18026588
	v_mul_f32_dpp v48, v141, v48 row_newbcast:12 row_mask:0xf bank_mask:0xf// 00000000B4E8: 0A6060FA FF015C8D
	v_mul_f32_dpp v49, v141, v49 row_newbcast:13 row_mask:0xf bank_mask:0xf// 00000000B4F0: 0A6262FA FF015D8D
	v_mul_f32_dpp v50, v141, v50 row_newbcast:14 row_mask:0xf bank_mask:0xf// 00000000B4F8: 0A6464FA FF015E8D
	v_mul_f32_dpp v51, v141, v51 row_newbcast:15 row_mask:0xf bank_mask:0xf// 00000000B500: 0A6666FA FF015F8D
	v_pk_mul_f32 v[52:53], v[138:139], v[52:53]                // 00000000B508: D3B14034 1802698A
	v_pk_mul_f32 v[54:55], v[138:139], v[54:55]                // 00000000B510: D3B14036 18026D8A
	v_mul_f32_dpp v52, v141, v52 row_newbcast:0 row_mask:0xf bank_mask:0xf// 00000000B518: 0A6868FA FF01508D
	v_mul_f32_dpp v53, v141, v53 row_newbcast:1 row_mask:0xf bank_mask:0xf// 00000000B520: 0A6A6AFA FF01518D
	v_mul_f32_dpp v54, v141, v54 row_newbcast:2 row_mask:0xf bank_mask:0xf// 00000000B528: 0A6C6CFA FF01528D
	v_mul_f32_dpp v55, v141, v55 row_newbcast:3 row_mask:0xf bank_mask:0xf// 00000000B530: 0A6E6EFA FF01538D
	v_pk_mul_f32 v[56:57], v[138:139], v[56:57]                // 00000000B538: D3B14038 1802718A
	v_pk_mul_f32 v[58:59], v[138:139], v[58:59]                // 00000000B540: D3B1403A 1802758A
	v_mul_f32_dpp v56, v141, v56 row_newbcast:4 row_mask:0xf bank_mask:0xf// 00000000B548: 0A7070FA FF01548D
	v_mul_f32_dpp v57, v141, v57 row_newbcast:5 row_mask:0xf bank_mask:0xf// 00000000B550: 0A7272FA FF01558D
	v_mul_f32_dpp v58, v141, v58 row_newbcast:6 row_mask:0xf bank_mask:0xf// 00000000B558: 0A7474FA FF01568D
	v_mul_f32_dpp v59, v141, v59 row_newbcast:7 row_mask:0xf bank_mask:0xf// 00000000B560: 0A7676FA FF01578D
	v_pk_mul_f32 v[60:61], v[138:139], v[60:61]                // 00000000B568: D3B1403C 1802798A
	v_pk_mul_f32 v[62:63], v[138:139], v[62:63]                // 00000000B570: D3B1403E 18027D8A
	v_mul_f32_dpp v60, v141, v60 row_newbcast:8 row_mask:0xf bank_mask:0xf// 00000000B578: 0A7878FA FF01588D
	v_mul_f32_dpp v61, v141, v61 row_newbcast:9 row_mask:0xf bank_mask:0xf// 00000000B580: 0A7A7AFA FF01598D
	v_mul_f32_dpp v62, v141, v62 row_newbcast:10 row_mask:0xf bank_mask:0xf// 00000000B588: 0A7C7CFA FF015A8D
	v_mul_f32_dpp v63, v141, v63 row_newbcast:11 row_mask:0xf bank_mask:0xf// 00000000B590: 0A7E7EFA FF015B8D
	v_pk_mul_f32 v[64:65], v[138:139], v[64:65]                // 00000000B598: D3B14040 1802818A
	v_pk_mul_f32 v[66:67], v[138:139], v[66:67]                // 00000000B5A0: D3B14042 1802858A
	v_mul_f32_dpp v64, v141, v64 row_newbcast:12 row_mask:0xf bank_mask:0xf// 00000000B5A8: 0A8080FA FF015C8D
	v_mul_f32_dpp v65, v141, v65 row_newbcast:13 row_mask:0xf bank_mask:0xf// 00000000B5B0: 0A8282FA FF015D8D
	v_mul_f32_dpp v66, v141, v66 row_newbcast:14 row_mask:0xf bank_mask:0xf// 00000000B5B8: 0A8484FA FF015E8D
	v_mul_f32_dpp v67, v141, v67 row_newbcast:15 row_mask:0xf bank_mask:0xf// 00000000B5C0: 0A8686FA FF015F8D
	v_mov_b32_e32 v176, v4                                     // 00000000B5C8: 7F600304
	v_max3_f32 v176, v4, v5, v176                              // 00000000B5CC: D1D300B0 06C20B04
	v_max3_f32 v176, v6, v7, v176                              // 00000000B5D4: D1D300B0 06C20F06
	v_max3_f32 v176, v8, v9, v176                              // 00000000B5DC: D1D300B0 06C21308
	v_max3_f32 v176, v10, v11, v176                            // 00000000B5E4: D1D300B0 06C2170A
	v_max3_f32 v176, v12, v13, v176                            // 00000000B5EC: D1D300B0 06C21B0C
	v_max3_f32 v176, v14, v15, v176                            // 00000000B5F4: D1D300B0 06C21F0E
	v_max3_f32 v176, v16, v17, v176                            // 00000000B5FC: D1D300B0 06C22310
	v_max3_f32 v176, v18, v19, v176                            // 00000000B604: D1D300B0 06C22712
	v_mov_b32_e32 v177, v20                                    // 00000000B60C: 7F620314
	v_max3_f32 v177, v20, v21, v177                            // 00000000B610: D1D300B1 06C62B14
	v_max3_f32 v177, v22, v23, v177                            // 00000000B618: D1D300B1 06C62F16
	v_max3_f32 v177, v24, v25, v177                            // 00000000B620: D1D300B1 06C63318
	v_max3_f32 v177, v26, v27, v177                            // 00000000B628: D1D300B1 06C6371A
	v_max3_f32 v177, v28, v29, v177                            // 00000000B630: D1D300B1 06C63B1C
	v_max3_f32 v177, v30, v31, v177                            // 00000000B638: D1D300B1 06C63F1E
	v_max3_f32 v177, v32, v33, v177                            // 00000000B640: D1D300B1 06C64320
	v_max3_f32 v177, v34, v35, v177                            // 00000000B648: D1D300B1 06C64722
	v_mov_b32_e32 v178, v36                                    // 00000000B650: 7F640324
	v_max3_f32 v178, v36, v37, v178                            // 00000000B654: D1D300B2 06CA4B24
	v_max3_f32 v178, v38, v39, v178                            // 00000000B65C: D1D300B2 06CA4F26
	v_max3_f32 v178, v40, v41, v178                            // 00000000B664: D1D300B2 06CA5328
	v_max3_f32 v178, v42, v43, v178                            // 00000000B66C: D1D300B2 06CA572A
	v_max3_f32 v178, v44, v45, v178                            // 00000000B674: D1D300B2 06CA5B2C
	v_max3_f32 v178, v46, v47, v178                            // 00000000B67C: D1D300B2 06CA5F2E
	v_max3_f32 v178, v48, v49, v178                            // 00000000B684: D1D300B2 06CA6330
	v_max3_f32 v178, v50, v51, v178                            // 00000000B68C: D1D300B2 06CA6732
	v_mov_b32_e32 v179, v52                                    // 00000000B694: 7F660334
	v_max3_f32 v179, v52, v53, v179                            // 00000000B698: D1D300B3 06CE6B34
	v_max3_f32 v179, v54, v55, v179                            // 00000000B6A0: D1D300B3 06CE6F36
	v_max3_f32 v179, v56, v57, v179                            // 00000000B6A8: D1D300B3 06CE7338
	v_max3_f32 v179, v58, v59, v179                            // 00000000B6B0: D1D300B3 06CE773A
	v_max3_f32 v179, v60, v61, v179                            // 00000000B6B8: D1D300B3 06CE7B3C
	v_max3_f32 v179, v62, v63, v179                            // 00000000B6C0: D1D300B3 06CE7F3E
	v_max3_f32 v179, v64, v65, v179                            // 00000000B6C8: D1D300B3 06CE8340
	v_max3_f32 v179, v66, v67, v179                            // 00000000B6D0: D1D300B3 06CE8742
	v_pk_mul_f32 v[100:101], v[160:161], v[100:101]            // 00000000B6D8: D3B14064 1802C9A0
	v_pk_mul_f32 v[102:103], v[160:161], v[102:103]            // 00000000B6E0: D3B14066 1802CDA0
	v_pk_mul_f32 v[104:105], v[160:161], v[104:105]            // 00000000B6E8: D3B14068 1802D1A0
	v_pk_mul_f32 v[106:107], v[160:161], v[106:107]            // 00000000B6F0: D3B1406A 1802D5A0
	v_pk_mul_f32 v[108:109], v[162:163], v[108:109]            // 00000000B6F8: D3B1406C 1802D9A2
	v_pk_mul_f32 v[110:111], v[162:163], v[110:111]            // 00000000B700: D3B1406E 1802DDA2
	v_pk_mul_f32 v[112:113], v[162:163], v[112:113]            // 00000000B708: D3B14070 1802E1A2
	v_pk_mul_f32 v[114:115], v[162:163], v[114:115]            // 00000000B710: D3B14072 1802E5A2
	v_pk_mul_f32 v[116:117], v[164:165], v[116:117]            // 00000000B718: D3B14074 1802E9A4
	v_pk_mul_f32 v[118:119], v[164:165], v[118:119]            // 00000000B720: D3B14076 1802EDA4
	v_pk_mul_f32 v[120:121], v[164:165], v[120:121]            // 00000000B728: D3B14078 1802F1A4
	v_pk_mul_f32 v[122:123], v[164:165], v[122:123]            // 00000000B730: D3B1407A 1802F5A4
	v_pk_mul_f32 v[124:125], v[166:167], v[124:125]            // 00000000B738: D3B1407C 1802F9A6
	v_pk_mul_f32 v[126:127], v[166:167], v[126:127]            // 00000000B740: D3B1407E 1802FDA6
	v_pk_mul_f32 v[128:129], v[166:167], v[128:129]            // 00000000B748: D3B14080 180301A6
	v_pk_mul_f32 v[130:131], v[166:167], v[130:131]            // 00000000B750: D3B14082 180305A6
	ds_bpermute_b32 v180, v200, v176                           // 00000000B758: D87E0000 B400B0C8
	ds_bpermute_b32 v181, v201, v176                           // 00000000B760: D87E0000 B500B0C9
	ds_bpermute_b32 v182, v202, v176                           // 00000000B768: D87E0000 B600B0CA
	ds_bpermute_b32 v183, v200, v177                           // 00000000B770: D87E0000 B700B1C8
	ds_bpermute_b32 v184, v201, v177                           // 00000000B778: D87E0000 B800B1C9
	ds_bpermute_b32 v185, v202, v177                           // 00000000B780: D87E0000 B900B1CA
	ds_bpermute_b32 v186, v200, v178                           // 00000000B788: D87E0000 BA00B2C8
	ds_bpermute_b32 v187, v201, v178                           // 00000000B790: D87E0000 BB00B2C9
	ds_bpermute_b32 v188, v202, v178                           // 00000000B798: D87E0000 BC00B2CA
	ds_bpermute_b32 v189, v200, v179                           // 00000000B7A0: D87E0000 BD00B3C8
	ds_bpermute_b32 v190, v201, v179                           // 00000000B7A8: D87E0000 BE00B3C9
	ds_bpermute_b32 v191, v202, v179                           // 00000000B7B0: D87E0000 BF00B3CA
	s_waitcnt lgkmcnt(9)                                       // 00000000B7B8: BF8CC97F
	v_max3_f32 v176, v180, v181, v176                          // 00000000B7BC: D1D300B0 06C36BB4
	v_max_f32_e32 v176, v182, v176                             // 00000000B7C4: 176161B6
	s_waitcnt lgkmcnt(6)                                       // 00000000B7C8: BF8CC67F
	v_max3_f32 v177, v183, v184, v177                          // 00000000B7CC: D1D300B1 06C771B7
	v_max_f32_e32 v177, v185, v177                             // 00000000B7D4: 176363B9
	s_waitcnt lgkmcnt(3)                                       // 00000000B7D8: BF8CC37F
	v_max3_f32 v178, v186, v187, v178                          // 00000000B7DC: D1D300B2 06CB77BA
	v_max_f32_e32 v178, v188, v178                             // 00000000B7E4: 176565BC
	s_waitcnt lgkmcnt(0)                                       // 00000000B7E8: BF8CC07F
	v_max3_f32 v179, v189, v190, v179                          // 00000000B7EC: D1D300B3 06CF7DBD
	v_max_f32_e32 v179, v191, v179                             // 00000000B7F4: 176767BF
	ds_write_b128 v247, v[176:179]                             // 00000000B7F8: D9BE0000 0000B0F7
	s_waitcnt lgkmcnt(0)                                       // 00000000B800: BF8CC07F
	s_barrier                                                  // 00000000B804: BF8A0000
	v_pk_mul_f32 v[68:69], v[144:145], v[68:69]                // 00000000B808: D3B14044 18028990
	v_pk_mul_f32 v[70:71], v[144:145], v[70:71]                // 00000000B810: D3B14046 18028D90
	v_pk_mul_f32 v[72:73], v[144:145], v[72:73]                // 00000000B818: D3B14048 18029190
	v_pk_mul_f32 v[74:75], v[144:145], v[74:75]                // 00000000B820: D3B1404A 18029590
	v_pk_mul_f32 v[76:77], v[146:147], v[76:77]                // 00000000B828: D3B1404C 18029992
	v_pk_mul_f32 v[78:79], v[146:147], v[78:79]                // 00000000B830: D3B1404E 18029D92
	v_pk_mul_f32 v[80:81], v[146:147], v[80:81]                // 00000000B838: D3B14050 1802A192
	v_pk_mul_f32 v[82:83], v[146:147], v[82:83]                // 00000000B840: D3B14052 1802A592
	v_pk_mul_f32 v[84:85], v[148:149], v[84:85]                // 00000000B848: D3B14054 1802A994
	v_pk_mul_f32 v[86:87], v[148:149], v[86:87]                // 00000000B850: D3B14056 1802AD94
	v_pk_mul_f32 v[88:89], v[148:149], v[88:89]                // 00000000B858: D3B14058 1802B194
	v_pk_mul_f32 v[90:91], v[148:149], v[90:91]                // 00000000B860: D3B1405A 1802B594
	v_pk_mul_f32 v[92:93], v[150:151], v[92:93]                // 00000000B868: D3B1405C 1802B996
	v_pk_mul_f32 v[94:95], v[150:151], v[94:95]                // 00000000B870: D3B1405E 1802BD96
	v_pk_mul_f32 v[96:97], v[150:151], v[96:97]                // 00000000B878: D3B14060 1802C196
	v_pk_mul_f32 v[98:99], v[150:151], v[98:99]                // 00000000B880: D3B14062 1802C596
	ds_read_b128 v[180:183], v248                              // 00000000B888: D9FE0000 B40000F8
	ds_read_b128 v[184:187], v248 offset:256                   // 00000000B890: D9FE0100 B80000F8
	ds_read_b128 v[188:191], v248 offset:512                   // 00000000B898: D9FE0200 BC0000F8
	ds_read_b128 v[192:195], v248 offset:768                   // 00000000B8A0: D9FE0300 C00000F8
	s_waitcnt lgkmcnt(0)                                       // 00000000B8A8: BF8CC07F
	v_max3_f32 v176, v180, v184, v176                          // 00000000B8AC: D1D300B0 06C371B4
	v_max3_f32 v177, v181, v185, v177                          // 00000000B8B4: D1D300B1 06C773B5
	v_max3_f32 v178, v182, v186, v178                          // 00000000B8BC: D1D300B2 06CB75B6
	v_max3_f32 v179, v183, v187, v179                          // 00000000B8C4: D1D300B3 06CF77B7
	v_max3_f32 v176, v188, v192, v176                          // 00000000B8CC: D1D300B0 06C381BC
	v_max3_f32 v177, v189, v193, v177                          // 00000000B8D4: D1D300B1 06C783BD
	v_max3_f32 v178, v190, v194, v178                          // 00000000B8DC: D1D300B2 06CB85BE
	v_max3_f32 v179, v191, v195, v179                          // 00000000B8E4: D1D300B3 06CF87BF
	v_max_f32_e32 v156, v176, v152                             // 00000000B8EC: 173931B0
	v_mul_f32_e64 v196, -s46, v156                             // 00000000B8F0: D10500C4 2003382E
	v_mov_b32_e32 v197, v196                                   // 00000000B8F8: 7F8A03C4
	v_pk_fma_f32 v[4:5], v[4:5], s[46:47], v[196:197]          // 00000000B8FC: D3B04004 1F105D04
	v_pk_fma_f32 v[6:7], v[6:7], s[46:47], v[196:197]          // 00000000B904: D3B04006 1F105D06
	v_exp_f32_e32 v4, v4                                       // 00000000B90C: 7E084104
	v_exp_f32_e32 v5, v5                                       // 00000000B910: 7E0A4105
	v_exp_f32_e32 v6, v6                                       // 00000000B914: 7E0C4106
	v_exp_f32_e32 v7, v7                                       // 00000000B918: 7E0E4107
	v_pk_fma_f32 v[8:9], v[8:9], s[46:47], v[196:197]          // 00000000B91C: D3B04008 1F105D08
	v_pk_fma_f32 v[10:11], v[10:11], s[46:47], v[196:197]      // 00000000B924: D3B0400A 1F105D0A
	v_exp_f32_e32 v8, v8                                       // 00000000B92C: 7E104108
	v_exp_f32_e32 v9, v9                                       // 00000000B930: 7E124109
	v_exp_f32_e32 v10, v10                                     // 00000000B934: 7E14410A
	v_exp_f32_e32 v11, v11                                     // 00000000B938: 7E16410B
	v_pk_fma_f32 v[12:13], v[12:13], s[46:47], v[196:197]      // 00000000B93C: D3B0400C 1F105D0C
	v_pk_fma_f32 v[14:15], v[14:15], s[46:47], v[196:197]      // 00000000B944: D3B0400E 1F105D0E
	v_exp_f32_e32 v12, v12                                     // 00000000B94C: 7E18410C
	v_exp_f32_e32 v13, v13                                     // 00000000B950: 7E1A410D
	v_exp_f32_e32 v14, v14                                     // 00000000B954: 7E1C410E
	v_exp_f32_e32 v15, v15                                     // 00000000B958: 7E1E410F
	v_pk_fma_f32 v[16:17], v[16:17], s[46:47], v[196:197]      // 00000000B95C: D3B04010 1F105D10
	v_pk_fma_f32 v[18:19], v[18:19], s[46:47], v[196:197]      // 00000000B964: D3B04012 1F105D12
	v_exp_f32_e32 v16, v16                                     // 00000000B96C: 7E204110
	v_exp_f32_e32 v17, v17                                     // 00000000B970: 7E224111
	v_exp_f32_e32 v18, v18                                     // 00000000B974: 7E244112
	v_exp_f32_e32 v19, v19                                     // 00000000B978: 7E264113
	v_max_f32_e32 v157, v177, v153                             // 00000000B97C: 173B33B1
	v_mul_f32_e64 v196, -s46, v157                             // 00000000B980: D10500C4 20033A2E
	v_mov_b32_e32 v197, v196                                   // 00000000B988: 7F8A03C4
	v_pk_fma_f32 v[20:21], v[20:21], s[46:47], v[196:197]      // 00000000B98C: D3B04014 1F105D14
	v_pk_fma_f32 v[22:23], v[22:23], s[46:47], v[196:197]      // 00000000B994: D3B04016 1F105D16
	v_exp_f32_e32 v20, v20                                     // 00000000B99C: 7E284114
	v_exp_f32_e32 v21, v21                                     // 00000000B9A0: 7E2A4115
	v_exp_f32_e32 v22, v22                                     // 00000000B9A4: 7E2C4116
	v_exp_f32_e32 v23, v23                                     // 00000000B9A8: 7E2E4117
	v_pk_fma_f32 v[24:25], v[24:25], s[46:47], v[196:197]      // 00000000B9AC: D3B04018 1F105D18
	v_pk_fma_f32 v[26:27], v[26:27], s[46:47], v[196:197]      // 00000000B9B4: D3B0401A 1F105D1A
	v_exp_f32_e32 v24, v24                                     // 00000000B9BC: 7E304118
	v_exp_f32_e32 v25, v25                                     // 00000000B9C0: 7E324119
	v_exp_f32_e32 v26, v26                                     // 00000000B9C4: 7E34411A
	v_exp_f32_e32 v27, v27                                     // 00000000B9C8: 7E36411B
	v_pk_fma_f32 v[28:29], v[28:29], s[46:47], v[196:197]      // 00000000B9CC: D3B0401C 1F105D1C
	v_pk_fma_f32 v[30:31], v[30:31], s[46:47], v[196:197]      // 00000000B9D4: D3B0401E 1F105D1E
	v_exp_f32_e32 v28, v28                                     // 00000000B9DC: 7E38411C
	v_exp_f32_e32 v29, v29                                     // 00000000B9E0: 7E3A411D
	v_exp_f32_e32 v30, v30                                     // 00000000B9E4: 7E3C411E
	v_exp_f32_e32 v31, v31                                     // 00000000B9E8: 7E3E411F
	v_pk_fma_f32 v[32:33], v[32:33], s[46:47], v[196:197]      // 00000000B9EC: D3B04020 1F105D20
	v_pk_fma_f32 v[34:35], v[34:35], s[46:47], v[196:197]      // 00000000B9F4: D3B04022 1F105D22
	v_exp_f32_e32 v32, v32                                     // 00000000B9FC: 7E404120
	v_exp_f32_e32 v33, v33                                     // 00000000BA00: 7E424121
	v_exp_f32_e32 v34, v34                                     // 00000000BA04: 7E444122
	v_exp_f32_e32 v35, v35                                     // 00000000BA08: 7E464123
	v_max_f32_e32 v158, v178, v154                             // 00000000BA0C: 173D35B2
	v_mul_f32_e64 v196, -s46, v158                             // 00000000BA10: D10500C4 20033C2E
	v_mov_b32_e32 v197, v196                                   // 00000000BA18: 7F8A03C4
	v_pk_fma_f32 v[36:37], v[36:37], s[46:47], v[196:197]      // 00000000BA1C: D3B04024 1F105D24
	v_pk_fma_f32 v[38:39], v[38:39], s[46:47], v[196:197]      // 00000000BA24: D3B04026 1F105D26
	v_exp_f32_e32 v36, v36                                     // 00000000BA2C: 7E484124
	v_exp_f32_e32 v37, v37                                     // 00000000BA30: 7E4A4125
	v_exp_f32_e32 v38, v38                                     // 00000000BA34: 7E4C4126
	v_exp_f32_e32 v39, v39                                     // 00000000BA38: 7E4E4127
	v_pk_fma_f32 v[40:41], v[40:41], s[46:47], v[196:197]      // 00000000BA3C: D3B04028 1F105D28
	v_pk_fma_f32 v[42:43], v[42:43], s[46:47], v[196:197]      // 00000000BA44: D3B0402A 1F105D2A
	v_exp_f32_e32 v40, v40                                     // 00000000BA4C: 7E504128
	v_exp_f32_e32 v41, v41                                     // 00000000BA50: 7E524129
	v_exp_f32_e32 v42, v42                                     // 00000000BA54: 7E54412A
	v_exp_f32_e32 v43, v43                                     // 00000000BA58: 7E56412B
	v_pk_fma_f32 v[44:45], v[44:45], s[46:47], v[196:197]      // 00000000BA5C: D3B0402C 1F105D2C
	v_pk_fma_f32 v[46:47], v[46:47], s[46:47], v[196:197]      // 00000000BA64: D3B0402E 1F105D2E
	v_exp_f32_e32 v44, v44                                     // 00000000BA6C: 7E58412C
	v_exp_f32_e32 v45, v45                                     // 00000000BA70: 7E5A412D
	v_exp_f32_e32 v46, v46                                     // 00000000BA74: 7E5C412E
	v_exp_f32_e32 v47, v47                                     // 00000000BA78: 7E5E412F
	v_pk_fma_f32 v[48:49], v[48:49], s[46:47], v[196:197]      // 00000000BA7C: D3B04030 1F105D30
	v_pk_fma_f32 v[50:51], v[50:51], s[46:47], v[196:197]      // 00000000BA84: D3B04032 1F105D32
	v_exp_f32_e32 v48, v48                                     // 00000000BA8C: 7E604130
	v_exp_f32_e32 v49, v49                                     // 00000000BA90: 7E624131
	v_exp_f32_e32 v50, v50                                     // 00000000BA94: 7E644132
	v_exp_f32_e32 v51, v51                                     // 00000000BA98: 7E664133
	v_max_f32_e32 v159, v179, v155                             // 00000000BA9C: 173F37B3
	v_mul_f32_e64 v196, -s46, v159                             // 00000000BAA0: D10500C4 20033E2E
	v_mov_b32_e32 v197, v196                                   // 00000000BAA8: 7F8A03C4
	v_pk_fma_f32 v[52:53], v[52:53], s[46:47], v[196:197]      // 00000000BAAC: D3B04034 1F105D34
	v_pk_fma_f32 v[54:55], v[54:55], s[46:47], v[196:197]      // 00000000BAB4: D3B04036 1F105D36
	v_exp_f32_e32 v52, v52                                     // 00000000BABC: 7E684134
	v_exp_f32_e32 v53, v53                                     // 00000000BAC0: 7E6A4135
	v_exp_f32_e32 v54, v54                                     // 00000000BAC4: 7E6C4136
	v_exp_f32_e32 v55, v55                                     // 00000000BAC8: 7E6E4137
	v_pk_fma_f32 v[56:57], v[56:57], s[46:47], v[196:197]      // 00000000BACC: D3B04038 1F105D38
	v_pk_fma_f32 v[58:59], v[58:59], s[46:47], v[196:197]      // 00000000BAD4: D3B0403A 1F105D3A
	v_exp_f32_e32 v56, v56                                     // 00000000BADC: 7E704138
	v_exp_f32_e32 v57, v57                                     // 00000000BAE0: 7E724139
	v_exp_f32_e32 v58, v58                                     // 00000000BAE4: 7E74413A
	v_exp_f32_e32 v59, v59                                     // 00000000BAE8: 7E76413B
	v_pk_fma_f32 v[60:61], v[60:61], s[46:47], v[196:197]      // 00000000BAEC: D3B0403C 1F105D3C
	v_pk_fma_f32 v[62:63], v[62:63], s[46:47], v[196:197]      // 00000000BAF4: D3B0403E 1F105D3E
	v_exp_f32_e32 v60, v60                                     // 00000000BAFC: 7E78413C
	v_exp_f32_e32 v61, v61                                     // 00000000BB00: 7E7A413D
	v_exp_f32_e32 v62, v62                                     // 00000000BB04: 7E7C413E
	v_exp_f32_e32 v63, v63                                     // 00000000BB08: 7E7E413F
	v_pk_fma_f32 v[64:65], v[64:65], s[46:47], v[196:197]      // 00000000BB0C: D3B04040 1F105D40
	v_pk_fma_f32 v[66:67], v[66:67], s[46:47], v[196:197]      // 00000000BB14: D3B04042 1F105D42
	v_exp_f32_e32 v64, v64                                     // 00000000BB1C: 7E804140
	v_exp_f32_e32 v65, v65                                     // 00000000BB20: 7E824141
	v_exp_f32_e32 v66, v66                                     // 00000000BB24: 7E844142
	v_exp_f32_e32 v67, v67                                     // 00000000BB28: 7E864143
	v_sub_f32_e32 v160, v152, v156                             // 00000000BB2C: 05413998
	v_cmp_eq_u32_e64 s[98:99], v216, v152                      // 00000000BB30: D0CA0062 000331D8
	v_cndmask_b32_e64 v160, v160, 0, s[98:99]                  // 00000000BB38: D10000A0 018901A0
	v_mov_b32_e32 v152, v156                                   // 00000000BB40: 7F30039C
	v_mul_f32_e32 v160, s46, v160                              // 00000000BB44: 0B41402E
	v_exp_f32_e32 v160, v160                                   // 00000000BB48: 7F4041A0
	v_sub_f32_e32 v162, v153, v157                             // 00000000BB4C: 05453B99
	v_cmp_eq_u32_e64 s[98:99], v216, v153                      // 00000000BB50: D0CA0062 000333D8
	v_cndmask_b32_e64 v162, v162, 0, s[98:99]                  // 00000000BB58: D10000A2 018901A2
	v_mov_b32_e32 v153, v157                                   // 00000000BB60: 7F32039D
	v_mul_f32_e32 v162, s46, v162                              // 00000000BB64: 0B45442E
	v_exp_f32_e32 v162, v162                                   // 00000000BB68: 7F4441A2
	v_sub_f32_e32 v164, v154, v158                             // 00000000BB6C: 05493D9A
	v_cmp_eq_u32_e64 s[98:99], v216, v154                      // 00000000BB70: D0CA0062 000335D8
	v_cndmask_b32_e64 v164, v164, 0, s[98:99]                  // 00000000BB78: D10000A4 018901A4
	v_mov_b32_e32 v154, v158                                   // 00000000BB80: 7F34039E
	v_mul_f32_e32 v164, s46, v164                              // 00000000BB84: 0B49482E
	v_exp_f32_e32 v164, v164                                   // 00000000BB88: 7F4841A4
	v_sub_f32_e32 v166, v155, v159                             // 00000000BB8C: 054D3F9B
	v_cmp_eq_u32_e64 s[98:99], v216, v155                      // 00000000BB90: D0CA0062 000337D8
	v_cndmask_b32_e64 v166, v166, 0, s[98:99]                  // 00000000BB98: D10000A6 018901A6
	v_mov_b32_e32 v155, v159                                   // 00000000BBA0: 7F36039F
	v_mul_f32_e32 v166, s46, v166                              // 00000000BBA4: 0B4D4C2E
	v_exp_f32_e32 v166, v166                                   // 00000000BBA8: 7F4C41A6
	v_mov_b32_e32 v161, v160                                   // 00000000BBAC: 7F4203A0
	v_mov_b32_e32 v163, v162                                   // 00000000BBB0: 7F4603A2
	v_mov_b32_e32 v165, v164                                   // 00000000BBB4: 7F4A03A4
	v_mov_b32_e32 v167, v166                                   // 00000000BBB8: 7F4E03A6
	v_mul_f32_e32 v168, v160, v168                             // 00000000BBBC: 0B5151A0
	v_mov_b32_e32 v169, 0                                      // 00000000BBC0: 7F520280
	v_pk_add_f32 v[168:169], v[4:5], v[168:169]                // 00000000BBC4: D3B240A8 18035104
	v_pk_add_f32 v[168:169], v[6:7], v[168:169]                // 00000000BBCC: D3B240A8 18035106
	v_pk_add_f32 v[168:169], v[8:9], v[168:169]                // 00000000BBD4: D3B240A8 18035108
	v_pk_add_f32 v[168:169], v[10:11], v[168:169]              // 00000000BBDC: D3B240A8 1803510A
	v_pk_add_f32 v[168:169], v[12:13], v[168:169]              // 00000000BBE4: D3B240A8 1803510C
	v_pk_add_f32 v[168:169], v[14:15], v[168:169]              // 00000000BBEC: D3B240A8 1803510E
	v_pk_add_f32 v[168:169], v[16:17], v[168:169]              // 00000000BBF4: D3B240A8 18035110
	v_pk_add_f32 v[168:169], v[18:19], v[168:169]              // 00000000BBFC: D3B240A8 18035112
	v_add_f32_e32 v168, v169, v168                             // 00000000BC04: 035151A9
	v_mul_f32_e32 v170, v162, v170                             // 00000000BC08: 0B5555A2
	v_mov_b32_e32 v171, 0                                      // 00000000BC0C: 7F560280
	v_pk_add_f32 v[170:171], v[20:21], v[170:171]              // 00000000BC10: D3B240AA 18035514
	v_pk_add_f32 v[170:171], v[22:23], v[170:171]              // 00000000BC18: D3B240AA 18035516
	v_pk_add_f32 v[170:171], v[24:25], v[170:171]              // 00000000BC20: D3B240AA 18035518
	v_pk_add_f32 v[170:171], v[26:27], v[170:171]              // 00000000BC28: D3B240AA 1803551A
	v_pk_add_f32 v[170:171], v[28:29], v[170:171]              // 00000000BC30: D3B240AA 1803551C
	v_pk_add_f32 v[170:171], v[30:31], v[170:171]              // 00000000BC38: D3B240AA 1803551E
	v_pk_add_f32 v[170:171], v[32:33], v[170:171]              // 00000000BC40: D3B240AA 18035520
	v_pk_add_f32 v[170:171], v[34:35], v[170:171]              // 00000000BC48: D3B240AA 18035522
	v_add_f32_e32 v170, v171, v170                             // 00000000BC50: 035555AB
	v_mul_f32_e32 v172, v164, v172                             // 00000000BC54: 0B5959A4
	v_mov_b32_e32 v173, 0                                      // 00000000BC58: 7F5A0280
	v_pk_add_f32 v[172:173], v[36:37], v[172:173]              // 00000000BC5C: D3B240AC 18035924
	v_pk_add_f32 v[172:173], v[38:39], v[172:173]              // 00000000BC64: D3B240AC 18035926
	v_pk_add_f32 v[172:173], v[40:41], v[172:173]              // 00000000BC6C: D3B240AC 18035928
	v_pk_add_f32 v[172:173], v[42:43], v[172:173]              // 00000000BC74: D3B240AC 1803592A
	v_pk_add_f32 v[172:173], v[44:45], v[172:173]              // 00000000BC7C: D3B240AC 1803592C
	v_pk_add_f32 v[172:173], v[46:47], v[172:173]              // 00000000BC84: D3B240AC 1803592E
	v_pk_add_f32 v[172:173], v[48:49], v[172:173]              // 00000000BC8C: D3B240AC 18035930
	v_pk_add_f32 v[172:173], v[50:51], v[172:173]              // 00000000BC94: D3B240AC 18035932
	v_add_f32_e32 v172, v173, v172                             // 00000000BC9C: 035959AD
	v_mul_f32_e32 v174, v166, v174                             // 00000000BCA0: 0B5D5DA6
	v_mov_b32_e32 v175, 0                                      // 00000000BCA4: 7F5E0280
	v_pk_add_f32 v[174:175], v[52:53], v[174:175]              // 00000000BCA8: D3B240AE 18035D34
	v_pk_add_f32 v[174:175], v[54:55], v[174:175]              // 00000000BCB0: D3B240AE 18035D36
	v_pk_add_f32 v[174:175], v[56:57], v[174:175]              // 00000000BCB8: D3B240AE 18035D38
	v_pk_add_f32 v[174:175], v[58:59], v[174:175]              // 00000000BCC0: D3B240AE 18035D3A
	v_pk_add_f32 v[174:175], v[60:61], v[174:175]              // 00000000BCC8: D3B240AE 18035D3C
	v_pk_add_f32 v[174:175], v[62:63], v[174:175]              // 00000000BCD0: D3B240AE 18035D3E
	v_pk_add_f32 v[174:175], v[64:65], v[174:175]              // 00000000BCD8: D3B240AE 18035D40
	v_pk_add_f32 v[174:175], v[66:67], v[174:175]              // 00000000BCE0: D3B240AE 18035D42
	v_add_f32_e32 v174, v175, v174                             // 00000000BCE8: 035D5DAF
	v_mul_f32_dpp v4, v143, v4 row_newbcast:0 row_mask:0xf bank_mask:0xf// 00000000BCEC: 0A0808FA FF01508F
	v_mul_f32_dpp v5, v143, v5 row_newbcast:1 row_mask:0xf bank_mask:0xf// 00000000BCF4: 0A0A0AFA FF01518F
	v_mul_f32_dpp v6, v143, v6 row_newbcast:2 row_mask:0xf bank_mask:0xf// 00000000BCFC: 0A0C0CFA FF01528F
	v_mul_f32_dpp v7, v143, v7 row_newbcast:3 row_mask:0xf bank_mask:0xf// 00000000BD04: 0A0E0EFA FF01538F
	v_mul_f32_dpp v8, v143, v8 row_newbcast:4 row_mask:0xf bank_mask:0xf// 00000000BD0C: 0A1010FA FF01548F
	v_mul_f32_dpp v9, v143, v9 row_newbcast:5 row_mask:0xf bank_mask:0xf// 00000000BD14: 0A1212FA FF01558F
	v_mul_f32_dpp v10, v143, v10 row_newbcast:6 row_mask:0xf bank_mask:0xf// 00000000BD1C: 0A1414FA FF01568F
	v_mul_f32_dpp v11, v143, v11 row_newbcast:7 row_mask:0xf bank_mask:0xf// 00000000BD24: 0A1616FA FF01578F
	v_mul_f32_dpp v12, v143, v12 row_newbcast:8 row_mask:0xf bank_mask:0xf// 00000000BD2C: 0A1818FA FF01588F
	v_mul_f32_dpp v13, v143, v13 row_newbcast:9 row_mask:0xf bank_mask:0xf// 00000000BD34: 0A1A1AFA FF01598F
	v_mul_f32_dpp v14, v143, v14 row_newbcast:10 row_mask:0xf bank_mask:0xf// 00000000BD3C: 0A1C1CFA FF015A8F
	v_mul_f32_dpp v15, v143, v15 row_newbcast:11 row_mask:0xf bank_mask:0xf// 00000000BD44: 0A1E1EFA FF015B8F
	v_mul_f32_dpp v16, v143, v16 row_newbcast:12 row_mask:0xf bank_mask:0xf// 00000000BD4C: 0A2020FA FF015C8F
	v_mul_f32_dpp v17, v143, v17 row_newbcast:13 row_mask:0xf bank_mask:0xf// 00000000BD54: 0A2222FA FF015D8F
	v_mul_f32_dpp v18, v143, v18 row_newbcast:14 row_mask:0xf bank_mask:0xf// 00000000BD5C: 0A2424FA FF015E8F
	v_mul_f32_dpp v19, v143, v19 row_newbcast:15 row_mask:0xf bank_mask:0xf// 00000000BD64: 0A2626FA FF015F8F
	v_mul_f32_dpp v20, v143, v20 row_newbcast:0 row_mask:0xf bank_mask:0xf// 00000000BD6C: 0A2828FA FF01508F
	v_mul_f32_dpp v21, v143, v21 row_newbcast:1 row_mask:0xf bank_mask:0xf// 00000000BD74: 0A2A2AFA FF01518F
	v_mul_f32_dpp v22, v143, v22 row_newbcast:2 row_mask:0xf bank_mask:0xf// 00000000BD7C: 0A2C2CFA FF01528F
	v_mul_f32_dpp v23, v143, v23 row_newbcast:3 row_mask:0xf bank_mask:0xf// 00000000BD84: 0A2E2EFA FF01538F
	v_mul_f32_dpp v24, v143, v24 row_newbcast:4 row_mask:0xf bank_mask:0xf// 00000000BD8C: 0A3030FA FF01548F
	v_mul_f32_dpp v25, v143, v25 row_newbcast:5 row_mask:0xf bank_mask:0xf// 00000000BD94: 0A3232FA FF01558F
	v_mul_f32_dpp v26, v143, v26 row_newbcast:6 row_mask:0xf bank_mask:0xf// 00000000BD9C: 0A3434FA FF01568F
	v_mul_f32_dpp v27, v143, v27 row_newbcast:7 row_mask:0xf bank_mask:0xf// 00000000BDA4: 0A3636FA FF01578F
	v_mul_f32_dpp v28, v143, v28 row_newbcast:8 row_mask:0xf bank_mask:0xf// 00000000BDAC: 0A3838FA FF01588F
	v_mul_f32_dpp v29, v143, v29 row_newbcast:9 row_mask:0xf bank_mask:0xf// 00000000BDB4: 0A3A3AFA FF01598F
	v_mul_f32_dpp v30, v143, v30 row_newbcast:10 row_mask:0xf bank_mask:0xf// 00000000BDBC: 0A3C3CFA FF015A8F
	v_mul_f32_dpp v31, v143, v31 row_newbcast:11 row_mask:0xf bank_mask:0xf// 00000000BDC4: 0A3E3EFA FF015B8F
	v_mul_f32_dpp v32, v143, v32 row_newbcast:12 row_mask:0xf bank_mask:0xf// 00000000BDCC: 0A4040FA FF015C8F
	v_mul_f32_dpp v33, v143, v33 row_newbcast:13 row_mask:0xf bank_mask:0xf// 00000000BDD4: 0A4242FA FF015D8F
	v_mul_f32_dpp v34, v143, v34 row_newbcast:14 row_mask:0xf bank_mask:0xf// 00000000BDDC: 0A4444FA FF015E8F
	v_mul_f32_dpp v35, v143, v35 row_newbcast:15 row_mask:0xf bank_mask:0xf// 00000000BDE4: 0A4646FA FF015F8F
	v_mul_f32_dpp v36, v143, v36 row_newbcast:0 row_mask:0xf bank_mask:0xf// 00000000BDEC: 0A4848FA FF01508F
	v_mul_f32_dpp v37, v143, v37 row_newbcast:1 row_mask:0xf bank_mask:0xf// 00000000BDF4: 0A4A4AFA FF01518F
	v_mul_f32_dpp v38, v143, v38 row_newbcast:2 row_mask:0xf bank_mask:0xf// 00000000BDFC: 0A4C4CFA FF01528F
	v_mul_f32_dpp v39, v143, v39 row_newbcast:3 row_mask:0xf bank_mask:0xf// 00000000BE04: 0A4E4EFA FF01538F
	v_mul_f32_dpp v40, v143, v40 row_newbcast:4 row_mask:0xf bank_mask:0xf// 00000000BE0C: 0A5050FA FF01548F
	v_mul_f32_dpp v41, v143, v41 row_newbcast:5 row_mask:0xf bank_mask:0xf// 00000000BE14: 0A5252FA FF01558F
	v_mul_f32_dpp v42, v143, v42 row_newbcast:6 row_mask:0xf bank_mask:0xf// 00000000BE1C: 0A5454FA FF01568F
	v_mul_f32_dpp v43, v143, v43 row_newbcast:7 row_mask:0xf bank_mask:0xf// 00000000BE24: 0A5656FA FF01578F
	v_mul_f32_dpp v44, v143, v44 row_newbcast:8 row_mask:0xf bank_mask:0xf// 00000000BE2C: 0A5858FA FF01588F
	v_mul_f32_dpp v45, v143, v45 row_newbcast:9 row_mask:0xf bank_mask:0xf// 00000000BE34: 0A5A5AFA FF01598F
	v_mul_f32_dpp v46, v143, v46 row_newbcast:10 row_mask:0xf bank_mask:0xf// 00000000BE3C: 0A5C5CFA FF015A8F
	v_mul_f32_dpp v47, v143, v47 row_newbcast:11 row_mask:0xf bank_mask:0xf// 00000000BE44: 0A5E5EFA FF015B8F
	v_mul_f32_dpp v48, v143, v48 row_newbcast:12 row_mask:0xf bank_mask:0xf// 00000000BE4C: 0A6060FA FF015C8F
	v_mul_f32_dpp v49, v143, v49 row_newbcast:13 row_mask:0xf bank_mask:0xf// 00000000BE54: 0A6262FA FF015D8F
	v_mul_f32_dpp v50, v143, v50 row_newbcast:14 row_mask:0xf bank_mask:0xf// 00000000BE5C: 0A6464FA FF015E8F
	v_mul_f32_dpp v51, v143, v51 row_newbcast:15 row_mask:0xf bank_mask:0xf// 00000000BE64: 0A6666FA FF015F8F
	v_mul_f32_dpp v52, v143, v52 row_newbcast:0 row_mask:0xf bank_mask:0xf// 00000000BE6C: 0A6868FA FF01508F
	v_mul_f32_dpp v53, v143, v53 row_newbcast:1 row_mask:0xf bank_mask:0xf// 00000000BE74: 0A6A6AFA FF01518F
	v_mul_f32_dpp v54, v143, v54 row_newbcast:2 row_mask:0xf bank_mask:0xf// 00000000BE7C: 0A6C6CFA FF01528F
	v_mul_f32_dpp v55, v143, v55 row_newbcast:3 row_mask:0xf bank_mask:0xf// 00000000BE84: 0A6E6EFA FF01538F
	v_mul_f32_dpp v56, v143, v56 row_newbcast:4 row_mask:0xf bank_mask:0xf// 00000000BE8C: 0A7070FA FF01548F
	v_mul_f32_dpp v57, v143, v57 row_newbcast:5 row_mask:0xf bank_mask:0xf// 00000000BE94: 0A7272FA FF01558F
	v_mul_f32_dpp v58, v143, v58 row_newbcast:6 row_mask:0xf bank_mask:0xf// 00000000BE9C: 0A7474FA FF01568F
	v_mul_f32_dpp v59, v143, v59 row_newbcast:7 row_mask:0xf bank_mask:0xf// 00000000BEA4: 0A7676FA FF01578F
	v_mul_f32_dpp v60, v143, v60 row_newbcast:8 row_mask:0xf bank_mask:0xf// 00000000BEAC: 0A7878FA FF01588F
	v_mul_f32_dpp v61, v143, v61 row_newbcast:9 row_mask:0xf bank_mask:0xf// 00000000BEB4: 0A7A7AFA FF01598F
	v_mul_f32_dpp v62, v143, v62 row_newbcast:10 row_mask:0xf bank_mask:0xf// 00000000BEBC: 0A7C7CFA FF015A8F
	v_mul_f32_dpp v63, v143, v63 row_newbcast:11 row_mask:0xf bank_mask:0xf// 00000000BEC4: 0A7E7EFA FF015B8F
	v_mul_f32_dpp v64, v143, v64 row_newbcast:12 row_mask:0xf bank_mask:0xf// 00000000BECC: 0A8080FA FF015C8F
	v_mul_f32_dpp v65, v143, v65 row_newbcast:13 row_mask:0xf bank_mask:0xf// 00000000BED4: 0A8282FA FF015D8F
	v_mul_f32_dpp v66, v143, v66 row_newbcast:14 row_mask:0xf bank_mask:0xf// 00000000BEDC: 0A8484FA FF015E8F
	v_mul_f32_dpp v67, v143, v67 row_newbcast:15 row_mask:0xf bank_mask:0xf// 00000000BEE4: 0A8686FA FF015F8F
	v_mov_b32_e32 v176, 0x358637bd                             // 00000000BEEC: 7F6002FF 358637BD
	v_max3_f32 v176, |v4|, |v5|, v176                          // 00000000BEF4: D1D303B0 06C20B04
	v_max3_f32 v176, |v6|, |v7|, v176                          // 00000000BEFC: D1D303B0 06C20F06
	v_max3_f32 v176, |v8|, |v9|, v176                          // 00000000BF04: D1D303B0 06C21308
	v_max3_f32 v176, |v10|, |v11|, v176                        // 00000000BF0C: D1D303B0 06C2170A
	v_max3_f32 v176, |v12|, |v13|, v176                        // 00000000BF14: D1D303B0 06C21B0C
	v_max3_f32 v176, |v14|, |v15|, v176                        // 00000000BF1C: D1D303B0 06C21F0E
	v_max3_f32 v176, |v16|, |v17|, v176                        // 00000000BF24: D1D303B0 06C22310
	v_max3_f32 v176, |v18|, |v19|, v176                        // 00000000BF2C: D1D303B0 06C22712
	v_mov_b32_e32 v177, 0x358637bd                             // 00000000BF34: 7F6202FF 358637BD
	v_max3_f32 v177, |v20|, |v21|, v177                        // 00000000BF3C: D1D303B1 06C62B14
	v_max3_f32 v177, |v22|, |v23|, v177                        // 00000000BF44: D1D303B1 06C62F16
	v_max3_f32 v177, |v24|, |v25|, v177                        // 00000000BF4C: D1D303B1 06C63318
	v_max3_f32 v177, |v26|, |v27|, v177                        // 00000000BF54: D1D303B1 06C6371A
	v_max3_f32 v177, |v28|, |v29|, v177                        // 00000000BF5C: D1D303B1 06C63B1C
	v_max3_f32 v177, |v30|, |v31|, v177                        // 00000000BF64: D1D303B1 06C63F1E
	v_max3_f32 v177, |v32|, |v33|, v177                        // 00000000BF6C: D1D303B1 06C64320
	v_max3_f32 v177, |v34|, |v35|, v177                        // 00000000BF74: D1D303B1 06C64722
	v_mov_b32_e32 v178, 0x358637bd                             // 00000000BF7C: 7F6402FF 358637BD
	v_max3_f32 v178, |v36|, |v37|, v178                        // 00000000BF84: D1D303B2 06CA4B24
	v_max3_f32 v178, |v38|, |v39|, v178                        // 00000000BF8C: D1D303B2 06CA4F26
	v_max3_f32 v178, |v40|, |v41|, v178                        // 00000000BF94: D1D303B2 06CA5328
	v_max3_f32 v178, |v42|, |v43|, v178                        // 00000000BF9C: D1D303B2 06CA572A
	v_max3_f32 v178, |v44|, |v45|, v178                        // 00000000BFA4: D1D303B2 06CA5B2C
	v_max3_f32 v178, |v46|, |v47|, v178                        // 00000000BFAC: D1D303B2 06CA5F2E
	v_max3_f32 v178, |v48|, |v49|, v178                        // 00000000BFB4: D1D303B2 06CA6330
	v_max3_f32 v178, |v50|, |v51|, v178                        // 00000000BFBC: D1D303B2 06CA6732
	v_mov_b32_e32 v179, 0x358637bd                             // 00000000BFC4: 7F6602FF 358637BD
	v_max3_f32 v179, |v52|, |v53|, v179                        // 00000000BFCC: D1D303B3 06CE6B34
	v_max3_f32 v179, |v54|, |v55|, v179                        // 00000000BFD4: D1D303B3 06CE6F36
	v_max3_f32 v179, |v56|, |v57|, v179                        // 00000000BFDC: D1D303B3 06CE7338
	v_max3_f32 v179, |v58|, |v59|, v179                        // 00000000BFE4: D1D303B3 06CE773A
	v_max3_f32 v179, |v60|, |v61|, v179                        // 00000000BFEC: D1D303B3 06CE7B3C
	v_max3_f32 v179, |v62|, |v63|, v179                        // 00000000BFF4: D1D303B3 06CE7F3E
	v_max3_f32 v179, |v64|, |v65|, v179                        // 00000000BFFC: D1D303B3 06CE8340
	v_max3_f32 v179, |v66|, |v67|, v179                        // 00000000C004: D1D303B3 06CE8742
	ds_bpermute_b32 v180, v200, v176                           // 00000000C00C: D87E0000 B400B0C8
	ds_bpermute_b32 v181, v201, v176                           // 00000000C014: D87E0000 B500B0C9
	ds_bpermute_b32 v182, v202, v176                           // 00000000C01C: D87E0000 B600B0CA
	ds_bpermute_b32 v183, v200, v177                           // 00000000C024: D87E0000 B700B1C8
	ds_bpermute_b32 v184, v201, v177                           // 00000000C02C: D87E0000 B800B1C9
	ds_bpermute_b32 v185, v202, v177                           // 00000000C034: D87E0000 B900B1CA
	ds_bpermute_b32 v186, v200, v178                           // 00000000C03C: D87E0000 BA00B2C8
	ds_bpermute_b32 v187, v201, v178                           // 00000000C044: D87E0000 BB00B2C9
	ds_bpermute_b32 v188, v202, v178                           // 00000000C04C: D87E0000 BC00B2CA
	ds_bpermute_b32 v189, v200, v179                           // 00000000C054: D87E0000 BD00B3C8
	ds_bpermute_b32 v190, v201, v179                           // 00000000C05C: D87E0000 BE00B3C9
	ds_bpermute_b32 v191, v202, v179                           // 00000000C064: D87E0000 BF00B3CA
	s_waitcnt lgkmcnt(9)                                       // 00000000C06C: BF8CC97F
	v_max3_f32 v176, v180, v181, v176                          // 00000000C070: D1D300B0 06C36BB4
	v_max_f32_e32 v176, v182, v176                             // 00000000C078: 176161B6
	s_waitcnt lgkmcnt(6)                                       // 00000000C07C: BF8CC67F
	v_max3_f32 v177, v183, v184, v177                          // 00000000C080: D1D300B1 06C771B7
	v_max_f32_e32 v177, v185, v177                             // 00000000C088: 176363B9
	s_waitcnt lgkmcnt(3)                                       // 00000000C08C: BF8CC37F
	v_max3_f32 v178, v186, v187, v178                          // 00000000C090: D1D300B2 06CB77BA
	v_max_f32_e32 v178, v188, v178                             // 00000000C098: 176565BC
	s_waitcnt lgkmcnt(0)                                       // 00000000C09C: BF8CC07F
	v_max3_f32 v179, v189, v190, v179                          // 00000000C0A0: D1D300B3 06CF7DBD
	v_max_f32_e32 v179, v191, v179                             // 00000000C0A8: 176767BF
	ds_write_b128 v247, v[176:179] offset:4096                 // 00000000C0AC: D9BE1000 0000B0F7
	buffer_load_dword v140, v231, s[20:23], 0 offen            // 00000000C0B4: E0501000 80058CE7
	s_waitcnt lgkmcnt(0)                                       // 00000000C0BC: BF8CC07F
	s_barrier                                                  // 00000000C0C0: BF8A0000
	buffer_load_dword v142, v232, s[24:27], 0 offen            // 00000000C0C4: E0501000 80068EE8
	ds_read_b128 v[180:183], v248 offset:4096                  // 00000000C0CC: D9FE1000 B40000F8
	ds_read_b128 v[184:187], v248 offset:4352                  // 00000000C0D4: D9FE1100 B80000F8
	ds_read_b128 v[188:191], v248 offset:4608                  // 00000000C0DC: D9FE1200 BC0000F8
	ds_read_b128 v[192:195], v248 offset:4864                  // 00000000C0E4: D9FE1300 C00000F8
	s_waitcnt lgkmcnt(0)                                       // 00000000C0EC: BF8CC07F
	v_max3_f32 v176, v180, v184, v176                          // 00000000C0F0: D1D300B0 06C371B4
	v_max3_f32 v177, v181, v185, v177                          // 00000000C0F8: D1D300B1 06C773B5
	v_max3_f32 v178, v182, v186, v178                          // 00000000C100: D1D300B2 06CB75B6
	v_max3_f32 v179, v183, v187, v179                          // 00000000C108: D1D300B3 06CF77B7
	v_max3_f32 v176, v188, v192, v176                          // 00000000C110: D1D300B0 06C381BC
	v_max3_f32 v177, v189, v193, v177                          // 00000000C118: D1D300B1 06C783BD
	v_max3_f32 v178, v190, v194, v178                          // 00000000C120: D1D300B2 06CB85BE
	v_max3_f32 v179, v191, v195, v179                          // 00000000C128: D1D300B3 06CF87BF
	v_rcp_f32_e32 v176, v176                                   // 00000000C130: 7F6045B0
	v_rcp_f32_e32 v177, v177                                   // 00000000C134: 7F6245B1
	v_rcp_f32_e32 v178, v178                                   // 00000000C138: 7F6445B2
	v_rcp_f32_e32 v179, v179                                   // 00000000C13C: 7F6645B3
	v_mul_f32_e32 v176, 0x43700000, v176                       // 00000000C140: 0B6160FF 43700000
	v_mul_f32_e32 v177, 0x43700000, v177                       // 00000000C148: 0B6362FF 43700000
	v_mul_f32_e32 v178, 0x43700000, v178                       // 00000000C150: 0B6564FF 43700000
	v_mul_f32_e32 v179, 0x43700000, v179                       // 00000000C158: 0B6766FF 43700000
	v_mul_f32_e32 v4, v176, v4                                 // 00000000C160: 0A0809B0
	v_mul_f32_e32 v5, v176, v5                                 // 00000000C164: 0A0A0BB0
	v_mul_f32_e32 v6, v176, v6                                 // 00000000C168: 0A0C0DB0
	v_mul_f32_e32 v7, v176, v7                                 // 00000000C16C: 0A0E0FB0
	v_mul_f32_e32 v8, v176, v8                                 // 00000000C170: 0A1011B0
	v_mul_f32_e32 v9, v176, v9                                 // 00000000C174: 0A1213B0
	v_mul_f32_e32 v10, v176, v10                               // 00000000C178: 0A1415B0
	v_mul_f32_e32 v11, v176, v11                               // 00000000C17C: 0A1617B0
	v_mul_f32_e32 v12, v176, v12                               // 00000000C180: 0A1819B0
	v_mul_f32_e32 v13, v176, v13                               // 00000000C184: 0A1A1BB0
	v_mul_f32_e32 v14, v176, v14                               // 00000000C188: 0A1C1DB0
	v_mul_f32_e32 v15, v176, v15                               // 00000000C18C: 0A1E1FB0
	v_mul_f32_e32 v16, v176, v16                               // 00000000C190: 0A2021B0
	v_mul_f32_e32 v17, v176, v17                               // 00000000C194: 0A2223B0
	v_mul_f32_e32 v18, v176, v18                               // 00000000C198: 0A2425B0
	v_mul_f32_e32 v19, v176, v19                               // 00000000C19C: 0A2627B0
	v_mul_f32_e32 v20, v177, v20                               // 00000000C1A0: 0A2829B1
	v_mul_f32_e32 v21, v177, v21                               // 00000000C1A4: 0A2A2BB1
	v_mul_f32_e32 v22, v177, v22                               // 00000000C1A8: 0A2C2DB1
	v_mul_f32_e32 v23, v177, v23                               // 00000000C1AC: 0A2E2FB1
	v_mul_f32_e32 v24, v177, v24                               // 00000000C1B0: 0A3031B1
	v_mul_f32_e32 v25, v177, v25                               // 00000000C1B4: 0A3233B1
	v_mul_f32_e32 v26, v177, v26                               // 00000000C1B8: 0A3435B1
	v_mul_f32_e32 v27, v177, v27                               // 00000000C1BC: 0A3637B1
	v_mul_f32_e32 v28, v177, v28                               // 00000000C1C0: 0A3839B1
	v_mul_f32_e32 v29, v177, v29                               // 00000000C1C4: 0A3A3BB1
	v_mul_f32_e32 v30, v177, v30                               // 00000000C1C8: 0A3C3DB1
	v_mul_f32_e32 v31, v177, v31                               // 00000000C1CC: 0A3E3FB1
	v_mul_f32_e32 v32, v177, v32                               // 00000000C1D0: 0A4041B1
	v_mul_f32_e32 v33, v177, v33                               // 00000000C1D4: 0A4243B1
	v_mul_f32_e32 v34, v177, v34                               // 00000000C1D8: 0A4445B1
	v_mul_f32_e32 v35, v177, v35                               // 00000000C1DC: 0A4647B1
	v_mul_f32_e32 v36, v178, v36                               // 00000000C1E0: 0A4849B2
	v_mul_f32_e32 v37, v178, v37                               // 00000000C1E4: 0A4A4BB2
	v_mul_f32_e32 v38, v178, v38                               // 00000000C1E8: 0A4C4DB2
	v_mul_f32_e32 v39, v178, v39                               // 00000000C1EC: 0A4E4FB2
	v_mul_f32_e32 v40, v178, v40                               // 00000000C1F0: 0A5051B2
	v_mul_f32_e32 v41, v178, v41                               // 00000000C1F4: 0A5253B2
	v_mul_f32_e32 v42, v178, v42                               // 00000000C1F8: 0A5455B2
	v_mul_f32_e32 v43, v178, v43                               // 00000000C1FC: 0A5657B2
	v_mul_f32_e32 v44, v178, v44                               // 00000000C200: 0A5859B2
	v_mul_f32_e32 v45, v178, v45                               // 00000000C204: 0A5A5BB2
	v_mul_f32_e32 v46, v178, v46                               // 00000000C208: 0A5C5DB2
	v_mul_f32_e32 v47, v178, v47                               // 00000000C20C: 0A5E5FB2
	v_mul_f32_e32 v48, v178, v48                               // 00000000C210: 0A6061B2
	v_mul_f32_e32 v49, v178, v49                               // 00000000C214: 0A6263B2
	v_mul_f32_e32 v50, v178, v50                               // 00000000C218: 0A6465B2
	v_mul_f32_e32 v51, v178, v51                               // 00000000C21C: 0A6667B2
	v_mul_f32_e32 v52, v179, v52                               // 00000000C220: 0A6869B3
	v_mul_f32_e32 v53, v179, v53                               // 00000000C224: 0A6A6BB3
	v_mul_f32_e32 v54, v179, v54                               // 00000000C228: 0A6C6DB3
	v_mul_f32_e32 v55, v179, v55                               // 00000000C22C: 0A6E6FB3
	v_mul_f32_e32 v56, v179, v56                               // 00000000C230: 0A7071B3
	v_mul_f32_e32 v57, v179, v57                               // 00000000C234: 0A7273B3
	v_mul_f32_e32 v58, v179, v58                               // 00000000C238: 0A7475B3
	v_mul_f32_e32 v59, v179, v59                               // 00000000C23C: 0A7677B3
	v_mul_f32_e32 v60, v179, v60                               // 00000000C240: 0A7879B3
	v_mul_f32_e32 v61, v179, v61                               // 00000000C244: 0A7A7BB3
	v_mul_f32_e32 v62, v179, v62                               // 00000000C248: 0A7C7DB3
	v_mul_f32_e32 v63, v179, v63                               // 00000000C24C: 0A7E7FB3
	v_mul_f32_e32 v64, v179, v64                               // 00000000C250: 0A8081B3
	v_mul_f32_e32 v65, v179, v65                               // 00000000C254: 0A8283B3
	v_mul_f32_e32 v66, v179, v66                               // 00000000C258: 0A8485B3
	v_mul_f32_e32 v67, v179, v67                               // 00000000C25C: 0A8687B3
	v_cvt_pk_fp8_f32 v4, v4, v5                                // 00000000C260: D2A20004 00020B04
	v_cvt_pk_fp8_f32 v4, v6, v7 op_sel:[0,0,1]                 // 00000000C268: D2A24004 00020F06
	v_cvt_pk_fp8_f32 v5, v8, v9                                // 00000000C270: D2A20005 00021308
	v_cvt_pk_fp8_f32 v5, v10, v11 op_sel:[0,0,1]               // 00000000C278: D2A24005 0002170A
	v_cvt_pk_fp8_f32 v6, v12, v13                              // 00000000C280: D2A20006 00021B0C
	v_cvt_pk_fp8_f32 v6, v14, v15 op_sel:[0,0,1]               // 00000000C288: D2A24006 00021F0E
	v_cvt_pk_fp8_f32 v7, v16, v17                              // 00000000C290: D2A20007 00022310
	v_cvt_pk_fp8_f32 v7, v18, v19 op_sel:[0,0,1]               // 00000000C298: D2A24007 00022712
	v_cvt_pk_fp8_f32 v8, v20, v21                              // 00000000C2A0: D2A20008 00022B14
	v_cvt_pk_fp8_f32 v8, v22, v23 op_sel:[0,0,1]               // 00000000C2A8: D2A24008 00022F16
	v_cvt_pk_fp8_f32 v9, v24, v25                              // 00000000C2B0: D2A20009 00023318
	v_cvt_pk_fp8_f32 v9, v26, v27 op_sel:[0,0,1]               // 00000000C2B8: D2A24009 0002371A
	v_cvt_pk_fp8_f32 v10, v28, v29                             // 00000000C2C0: D2A2000A 00023B1C
	v_cvt_pk_fp8_f32 v10, v30, v31 op_sel:[0,0,1]              // 00000000C2C8: D2A2400A 00023F1E
	v_cvt_pk_fp8_f32 v11, v32, v33                             // 00000000C2D0: D2A2000B 00024320
	v_cvt_pk_fp8_f32 v11, v34, v35 op_sel:[0,0,1]              // 00000000C2D8: D2A2400B 00024722
	v_cvt_pk_fp8_f32 v12, v36, v37                             // 00000000C2E0: D2A2000C 00024B24
	v_cvt_pk_fp8_f32 v12, v38, v39 op_sel:[0,0,1]              // 00000000C2E8: D2A2400C 00024F26
	v_cvt_pk_fp8_f32 v13, v40, v41                             // 00000000C2F0: D2A2000D 00025328
	v_cvt_pk_fp8_f32 v13, v42, v43 op_sel:[0,0,1]              // 00000000C2F8: D2A2400D 0002572A
	v_cvt_pk_fp8_f32 v14, v44, v45                             // 00000000C300: D2A2000E 00025B2C
	v_cvt_pk_fp8_f32 v14, v46, v47 op_sel:[0,0,1]              // 00000000C308: D2A2400E 00025F2E
	v_cvt_pk_fp8_f32 v15, v48, v49                             // 00000000C310: D2A2000F 00026330
	v_cvt_pk_fp8_f32 v15, v50, v51 op_sel:[0,0,1]              // 00000000C318: D2A2400F 00026732
	v_cvt_pk_fp8_f32 v16, v52, v53                             // 00000000C320: D2A20010 00026B34
	v_cvt_pk_fp8_f32 v16, v54, v55 op_sel:[0,0,1]              // 00000000C328: D2A24010 00026F36
	v_cvt_pk_fp8_f32 v17, v56, v57                             // 00000000C330: D2A20011 00027338
	v_cvt_pk_fp8_f32 v17, v58, v59 op_sel:[0,0,1]              // 00000000C338: D2A24011 0002773A
	v_cvt_pk_fp8_f32 v18, v60, v61                             // 00000000C340: D2A20012 00027B3C
	v_cvt_pk_fp8_f32 v18, v62, v63 op_sel:[0,0,1]              // 00000000C348: D2A24012 00027F3E
	v_cvt_pk_fp8_f32 v19, v64, v65                             // 00000000C350: D2A20013 00028340
	v_cvt_pk_fp8_f32 v19, v66, v67 op_sel:[0,0,1]              // 00000000C358: D2A24013 00028742
	ds_write_b32 v249, v4 offset:8192                          // 00000000C360: D81A2000 000004F9
	ds_write_b32 v249, v5 offset:9216                          // 00000000C368: D81A2400 000005F9
	ds_write_b32 v249, v6 offset:10240                         // 00000000C370: D81A2800 000006F9
	ds_write_b32 v249, v7 offset:11264                         // 00000000C378: D81A2C00 000007F9
	ds_write_b32 v249, v8 offset:12288                         // 00000000C380: D81A3000 000008F9
	ds_write_b32 v249, v9 offset:13312                         // 00000000C388: D81A3400 000009F9
	ds_write_b32 v249, v10 offset:14336                        // 00000000C390: D81A3800 00000AF9
	ds_write_b32 v249, v11 offset:15360                        // 00000000C398: D81A3C00 00000BF9
	ds_write_b32 v249, v12 offset:16384                        // 00000000C3A0: D81A4000 00000CF9
	ds_write_b32 v249, v13 offset:17408                        // 00000000C3A8: D81A4400 00000DF9
	ds_write_b32 v249, v14 offset:18432                        // 00000000C3B0: D81A4800 00000EF9
	ds_write_b32 v249, v15 offset:19456                        // 00000000C3B8: D81A4C00 00000FF9
	ds_write_b32 v249, v16 offset:20480                        // 00000000C3C0: D81A5000 000010F9
	ds_write_b32 v249, v17 offset:21504                        // 00000000C3C8: D81A5400 000011F9
	ds_write_b32 v249, v18 offset:22528                        // 00000000C3D0: D81A5800 000012F9
	ds_write_b32 v249, v19 offset:23552                        // 00000000C3D8: D81A5C00 000013F9
	v_rcp_f32_e32 v144, v176                                   // 00000000C3E0: 7F2045B0
	v_rcp_f32_e32 v146, v177                                   // 00000000C3E4: 7F2445B1
	v_rcp_f32_e32 v148, v178                                   // 00000000C3E8: 7F2845B2
	v_rcp_f32_e32 v150, v179                                   // 00000000C3EC: 7F2C45B3
	v_mov_b32_e32 v145, v144                                   // 00000000C3F0: 7F220390
	v_mov_b32_e32 v147, v146                                   // 00000000C3F4: 7F260392
	v_mov_b32_e32 v149, v148                                   // 00000000C3F8: 7F2A0394
	v_mov_b32_e32 v151, v150                                   // 00000000C3FC: 7F2E0396
	v_pk_add_f32 v[100:101], v[100:101], v[68:69]              // 00000000C400: D3B24064 18028964
	v_pk_add_f32 v[102:103], v[102:103], v[70:71]              // 00000000C408: D3B24066 18028D66
	v_pk_add_f32 v[104:105], v[104:105], v[72:73]              // 00000000C410: D3B24068 18029168
	v_pk_add_f32 v[106:107], v[106:107], v[74:75]              // 00000000C418: D3B2406A 1802956A
	v_pk_add_f32 v[108:109], v[108:109], v[76:77]              // 00000000C420: D3B2406C 1802996C
	v_pk_add_f32 v[110:111], v[110:111], v[78:79]              // 00000000C428: D3B2406E 18029D6E
	v_pk_add_f32 v[112:113], v[112:113], v[80:81]              // 00000000C430: D3B24070 1802A170
	v_pk_add_f32 v[114:115], v[114:115], v[82:83]              // 00000000C438: D3B24072 1802A572
	v_pk_add_f32 v[116:117], v[116:117], v[84:85]              // 00000000C440: D3B24074 1802A974
	v_pk_add_f32 v[118:119], v[118:119], v[86:87]              // 00000000C448: D3B24076 1802AD76
	v_pk_add_f32 v[120:121], v[120:121], v[88:89]              // 00000000C450: D3B24078 1802B178
	v_pk_add_f32 v[122:123], v[122:123], v[90:91]              // 00000000C458: D3B2407A 1802B57A
	v_pk_add_f32 v[124:125], v[124:125], v[92:93]              // 00000000C460: D3B2407C 1802B97C
	v_pk_add_f32 v[126:127], v[126:127], v[94:95]              // 00000000C468: D3B2407E 1802BD7E
	v_pk_add_f32 v[128:129], v[128:129], v[96:97]              // 00000000C470: D3B24080 1802C180
	v_pk_add_f32 v[130:131], v[130:131], v[98:99]              // 00000000C478: D3B24082 1802C582
	s_waitcnt lgkmcnt(0)                                       // 00000000C480: BF8CC07F
	s_barrier                                                  // 00000000C484: BF8A0000
	ds_read_b128 v[4:7], v250 offset:8192                      // 00000000C488: D9FE2000 040000FA
	ds_read_b128 v[8:11], v250 offset:9216                     // 00000000C490: D9FE2400 080000FA
	ds_read_b128 v[12:15], v250 offset:10240                   // 00000000C498: D9FE2800 0C0000FA
	ds_read_b128 v[16:19], v250 offset:11264                   // 00000000C4A0: D9FE2C00 100000FA
	ds_read_b128 v[20:23], v250 offset:12288                   // 00000000C4A8: D9FE3000 140000FA
	ds_read_b128 v[24:27], v250 offset:13312                   // 00000000C4B0: D9FE3400 180000FA
	ds_read_b128 v[28:31], v250 offset:14336                   // 00000000C4B8: D9FE3800 1C0000FA
	ds_read_b128 v[32:35], v250 offset:15360                   // 00000000C4C0: D9FE3C00 200000FA
	ds_read_b128 v[36:39], v250 offset:16384                   // 00000000C4C8: D9FE4000 240000FA
	ds_read_b128 v[40:43], v250 offset:17408                   // 00000000C4D0: D9FE4400 280000FA
	ds_read_b128 v[44:47], v250 offset:18432                   // 00000000C4D8: D9FE4800 2C0000FA
	ds_read_b128 v[48:51], v250 offset:19456                   // 00000000C4E0: D9FE4C00 300000FA
	ds_read_b128 v[52:55], v250 offset:20480                   // 00000000C4E8: D9FE5000 340000FA
	ds_read_b128 v[56:59], v250 offset:21504                   // 00000000C4F0: D9FE5400 380000FA
	ds_read_b128 v[60:63], v250 offset:22528                   // 00000000C4F8: D9FE5800 3C0000FA
	ds_read_b128 v[64:67], v250 offset:23552                   // 00000000C500: D9FE5C00 400000FA
	s_waitcnt vmcnt(10)                                        // 00000000C508: BF8C0F7A
	s_waitcnt vmcnt(63) expcnt(7) lgkmcnt(15)                  // 00000000C50C: BF8CCF7F
	v_mfma_f32_16x16x32_fp8_fp8 v[68:71], a[128:129], v[4:5], 0// 00000000C510: D3F30044 0A020980
	v_mfma_f32_16x16x32_fp8_fp8 v[72:75], a[144:145], v[4:5], 0// 00000000C518: D3F30048 0A020990
	v_mfma_f32_16x16x32_fp8_fp8 v[68:71], a[130:131], v[6:7], v[68:71]// 00000000C520: D3F30044 0D120D82
	buffer_load_dwordx4 a[96:99], v227, s[16:19], 0 offen      // 00000000C528: E05C1000 808460E3
	v_mfma_f32_16x16x32_fp8_fp8 v[72:75], a[146:147], v[6:7], v[72:75]// 00000000C530: D3F30048 0D220D92
	s_waitcnt lgkmcnt(14)                                      // 00000000C538: BF8CCE7F
	v_mfma_f32_16x16x32_fp8_fp8 v[68:71], a[132:133], v[8:9], v[68:71]// 00000000C53C: D3F30044 0D121184
	v_mfma_f32_16x16x32_fp8_fp8 v[72:75], a[148:149], v[8:9], v[72:75]// 00000000C544: D3F30048 0D221194
	v_mfma_f32_16x16x32_fp8_fp8 v[68:71], a[134:135], v[10:11], v[68:71]// 00000000C54C: D3F30044 0D121586
	buffer_load_dwordx4 a[100:103], v228, s[16:19], 0 offen    // 00000000C554: E05C1000 808464E4
	v_mfma_f32_16x16x32_fp8_fp8 v[72:75], a[150:151], v[10:11], v[72:75]// 00000000C55C: D3F30048 0D221596
	s_waitcnt lgkmcnt(13)                                      // 00000000C564: BF8CCD7F
	v_mfma_f32_16x16x32_fp8_fp8 v[68:71], a[136:137], v[12:13], v[68:71]// 00000000C568: D3F30044 0D121988
	v_mfma_f32_16x16x32_fp8_fp8 v[72:75], a[152:153], v[12:13], v[72:75]// 00000000C570: D3F30048 0D221998
	v_mfma_f32_16x16x32_fp8_fp8 v[68:71], a[138:139], v[14:15], v[68:71]// 00000000C578: D3F30044 0D121D8A
	buffer_load_dwordx4 a[104:107], v229, s[16:19], 0 offen    // 00000000C580: E05C1000 808468E5
	v_mfma_f32_16x16x32_fp8_fp8 v[72:75], a[154:155], v[14:15], v[72:75]// 00000000C588: D3F30048 0D221D9A
	s_waitcnt lgkmcnt(12)                                      // 00000000C590: BF8CCC7F
	v_mfma_f32_16x16x32_fp8_fp8 v[68:71], a[140:141], v[16:17], v[68:71]// 00000000C594: D3F30044 0D12218C
	v_mfma_f32_16x16x32_fp8_fp8 v[72:75], a[156:157], v[16:17], v[72:75]// 00000000C59C: D3F30048 0D22219C
	v_mfma_f32_16x16x32_fp8_fp8 v[68:71], a[142:143], v[18:19], v[68:71]// 00000000C5A4: D3F30044 0D12258E
	buffer_load_dwordx4 a[108:111], v230, s[16:19], 0 offen    // 00000000C5AC: E05C1000 80846CE6
	v_mfma_f32_16x16x32_fp8_fp8 v[72:75], a[158:159], v[18:19], v[72:75]// 00000000C5B4: D3F30048 0D22259E
	s_waitcnt lgkmcnt(11)                                      // 00000000C5BC: BF8CCB7F
	v_mfma_f32_16x16x32_fp8_fp8 v[76:79], a[128:129], v[20:21], 0// 00000000C5C0: D3F3004C 0A022980
	v_mfma_f32_16x16x32_fp8_fp8 v[80:83], a[144:145], v[20:21], 0// 00000000C5C8: D3F30050 0A022990
	v_mfma_f32_16x16x32_fp8_fp8 v[76:79], a[130:131], v[22:23], v[76:79]// 00000000C5D0: D3F3004C 0D322D82
	buffer_load_dwordx4 a[112:115], v227, s[16:19], 0 offen offset:1024// 00000000C5D8: E05C1400 808470E3
	v_mfma_f32_16x16x32_fp8_fp8 v[80:83], a[146:147], v[22:23], v[80:83]// 00000000C5E0: D3F30050 0D422D92
	s_waitcnt lgkmcnt(10)                                      // 00000000C5E8: BF8CCA7F
	v_mfma_f32_16x16x32_fp8_fp8 v[76:79], a[132:133], v[24:25], v[76:79]// 00000000C5EC: D3F3004C 0D323184
	v_mfma_f32_16x16x32_fp8_fp8 v[80:83], a[148:149], v[24:25], v[80:83]// 00000000C5F4: D3F30050 0D423194
	v_mfma_f32_16x16x32_fp8_fp8 v[76:79], a[134:135], v[26:27], v[76:79]// 00000000C5FC: D3F3004C 0D323586
	buffer_load_dwordx4 a[116:119], v228, s[16:19], 0 offen offset:1024// 00000000C604: E05C1400 808474E4
	v_mfma_f32_16x16x32_fp8_fp8 v[80:83], a[150:151], v[26:27], v[80:83]// 00000000C60C: D3F30050 0D423596
	s_waitcnt lgkmcnt(9)                                       // 00000000C614: BF8CC97F
	v_mfma_f32_16x16x32_fp8_fp8 v[76:79], a[136:137], v[28:29], v[76:79]// 00000000C618: D3F3004C 0D323988
	v_mfma_f32_16x16x32_fp8_fp8 v[80:83], a[152:153], v[28:29], v[80:83]// 00000000C620: D3F30050 0D423998
	v_mfma_f32_16x16x32_fp8_fp8 v[76:79], a[138:139], v[30:31], v[76:79]// 00000000C628: D3F3004C 0D323D8A
	buffer_load_dwordx4 a[120:123], v229, s[16:19], 0 offen offset:1024// 00000000C630: E05C1400 808478E5
	v_mfma_f32_16x16x32_fp8_fp8 v[80:83], a[154:155], v[30:31], v[80:83]// 00000000C638: D3F30050 0D423D9A
	s_waitcnt lgkmcnt(8)                                       // 00000000C640: BF8CC87F
	v_mfma_f32_16x16x32_fp8_fp8 v[76:79], a[140:141], v[32:33], v[76:79]// 00000000C644: D3F3004C 0D32418C
	v_mfma_f32_16x16x32_fp8_fp8 v[80:83], a[156:157], v[32:33], v[80:83]// 00000000C64C: D3F30050 0D42419C
	v_mfma_f32_16x16x32_fp8_fp8 v[76:79], a[142:143], v[34:35], v[76:79]// 00000000C654: D3F3004C 0D32458E
	buffer_load_dwordx4 a[124:127], v230, s[16:19], 0 offen offset:1024// 00000000C65C: E05C1400 80847CE6
	v_mfma_f32_16x16x32_fp8_fp8 v[80:83], a[158:159], v[34:35], v[80:83]// 00000000C664: D3F30050 0D42459E
	s_waitcnt lgkmcnt(7)                                       // 00000000C66C: BF8CC77F
	v_mfma_f32_16x16x32_fp8_fp8 v[84:87], a[128:129], v[36:37], 0// 00000000C670: D3F30054 0A024980
	v_mfma_f32_16x16x32_fp8_fp8 v[88:91], a[144:145], v[36:37], 0// 00000000C678: D3F30058 0A024990
	v_mfma_f32_16x16x32_fp8_fp8 v[84:87], a[130:131], v[38:39], v[84:87]// 00000000C680: D3F30054 0D524D82
	v_mfma_f32_16x16x32_fp8_fp8 v[88:91], a[146:147], v[38:39], v[88:91]// 00000000C688: D3F30058 0D624D92
	s_waitcnt lgkmcnt(6)                                       // 00000000C690: BF8CC67F
	v_mfma_f32_16x16x32_fp8_fp8 v[84:87], a[132:133], v[40:41], v[84:87]// 00000000C694: D3F30054 0D525184
	v_mfma_f32_16x16x32_fp8_fp8 v[88:91], a[148:149], v[40:41], v[88:91]// 00000000C69C: D3F30058 0D625194
	v_mfma_f32_16x16x32_fp8_fp8 v[84:87], a[134:135], v[42:43], v[84:87]// 00000000C6A4: D3F30054 0D525586
	v_mfma_f32_16x16x32_fp8_fp8 v[88:91], a[150:151], v[42:43], v[88:91]// 00000000C6AC: D3F30058 0D625596
	s_waitcnt lgkmcnt(5)                                       // 00000000C6B4: BF8CC57F
	v_mfma_f32_16x16x32_fp8_fp8 v[84:87], a[136:137], v[44:45], v[84:87]// 00000000C6B8: D3F30054 0D525988
	v_mfma_f32_16x16x32_fp8_fp8 v[88:91], a[152:153], v[44:45], v[88:91]// 00000000C6C0: D3F30058 0D625998
	v_mfma_f32_16x16x32_fp8_fp8 v[84:87], a[138:139], v[46:47], v[84:87]// 00000000C6C8: D3F30054 0D525D8A
	v_mfma_f32_16x16x32_fp8_fp8 v[88:91], a[154:155], v[46:47], v[88:91]// 00000000C6D0: D3F30058 0D625D9A
	s_waitcnt lgkmcnt(4)                                       // 00000000C6D8: BF8CC47F
	v_mfma_f32_16x16x32_fp8_fp8 v[84:87], a[140:141], v[48:49], v[84:87]// 00000000C6DC: D3F30054 0D52618C
	v_mfma_f32_16x16x32_fp8_fp8 v[88:91], a[156:157], v[48:49], v[88:91]// 00000000C6E4: D3F30058 0D62619C
	v_mfma_f32_16x16x32_fp8_fp8 v[84:87], a[142:143], v[50:51], v[84:87]// 00000000C6EC: D3F30054 0D52658E
	v_mfma_f32_16x16x32_fp8_fp8 v[88:91], a[158:159], v[50:51], v[88:91]// 00000000C6F4: D3F30058 0D62659E
	s_waitcnt lgkmcnt(3)                                       // 00000000C6FC: BF8CC37F
	v_mfma_f32_16x16x32_fp8_fp8 v[92:95], a[128:129], v[52:53], 0// 00000000C700: D3F3005C 0A026980
	v_mfma_f32_16x16x32_fp8_fp8 v[96:99], a[144:145], v[52:53], 0// 00000000C708: D3F30060 0A026990
	v_mfma_f32_16x16x32_fp8_fp8 v[92:95], a[130:131], v[54:55], v[92:95]// 00000000C710: D3F3005C 0D726D82
	v_mfma_f32_16x16x32_fp8_fp8 v[96:99], a[146:147], v[54:55], v[96:99]// 00000000C718: D3F30060 0D826D92
	s_waitcnt lgkmcnt(2)                                       // 00000000C720: BF8CC27F
	v_mfma_f32_16x16x32_fp8_fp8 v[92:95], a[132:133], v[56:57], v[92:95]// 00000000C724: D3F3005C 0D727184
	v_mfma_f32_16x16x32_fp8_fp8 v[96:99], a[148:149], v[56:57], v[96:99]// 00000000C72C: D3F30060 0D827194
	v_mfma_f32_16x16x32_fp8_fp8 v[92:95], a[134:135], v[58:59], v[92:95]// 00000000C734: D3F3005C 0D727586
	v_mfma_f32_16x16x32_fp8_fp8 v[96:99], a[150:151], v[58:59], v[96:99]// 00000000C73C: D3F30060 0D827596
	s_waitcnt lgkmcnt(1)                                       // 00000000C744: BF8CC17F
	v_mfma_f32_16x16x32_fp8_fp8 v[92:95], a[136:137], v[60:61], v[92:95]// 00000000C748: D3F3005C 0D727988
	v_mfma_f32_16x16x32_fp8_fp8 v[96:99], a[152:153], v[60:61], v[96:99]// 00000000C750: D3F30060 0D827998
	v_mfma_f32_16x16x32_fp8_fp8 v[92:95], a[138:139], v[62:63], v[92:95]// 00000000C758: D3F3005C 0D727D8A
	v_mfma_f32_16x16x32_fp8_fp8 v[96:99], a[154:155], v[62:63], v[96:99]// 00000000C760: D3F30060 0D827D9A
	s_waitcnt lgkmcnt(0)                                       // 00000000C768: BF8CC07F
	v_mfma_f32_16x16x32_fp8_fp8 v[92:95], a[140:141], v[64:65], v[92:95]// 00000000C76C: D3F3005C 0D72818C
	v_mfma_f32_16x16x32_fp8_fp8 v[96:99], a[156:157], v[64:65], v[96:99]// 00000000C774: D3F30060 0D82819C
	v_mfma_f32_16x16x32_fp8_fp8 v[92:95], a[142:143], v[66:67], v[92:95]// 00000000C77C: D3F3005C 0D72858E
	v_mfma_f32_16x16x32_fp8_fp8 v[96:99], a[158:159], v[66:67], v[96:99]// 00000000C784: D3F30060 0D82859E
	s_addk_i32 s64, 0x100                                      // 00000000C78C: B7400100
	s_cmp_lt_i32 s64, s63                                      // 00000000C790: BF043F40
	s_cbranch_scc0 label_4690                                  // 00000000C794: BF841EAA
	s_waitcnt vmcnt(10)                                        // 00000000C798: BF8C0F7A
	v_mfma_f32_16x16x32_fp8_fp8 v[4:7], a[32:33], a[0:1], 0    // 00000000C79C: D3F30004 1A020120
	s_add_u32 s12, s86, s69                                    // 00000000C7A4: 800C4556
	s_addc_u32 s13, s87, 0                                     // 00000000C7A8: 820D8057
	v_mfma_f32_16x16x32_fp8_fp8 v[4:7], a[34:35], a[2:3], v[4:7]// 00000000C7AC: D3F30004 1C120522
	s_add_u32 s16, s88, s70                                    // 00000000C7B4: 80104658
	s_addc_u32 s17, s89, 0                                     // 00000000C7B8: 82118059
	v_mfma_f32_16x16x32_fp8_fp8 v[4:7], a[36:37], a[4:5], v[4:7]// 00000000C7BC: D3F30004 1C120924
	buffer_load_dwordx4 a[64:67], v225, s[12:15], 0 offen      // 00000000C7C4: E05C1000 808340E1
	v_mfma_f32_16x16x32_fp8_fp8 v[4:7], a[38:39], a[6:7], v[4:7]// 00000000C7CC: D3F30004 1C120D26
	s_add_u32 s20, s90, s71                                    // 00000000C7D4: 8014475A
	s_addc_u32 s21, s91, 0                                     // 00000000C7D8: 8215805B
	v_mfma_f32_16x16x32_fp8_fp8 v[8:11], a[40:41], a[0:1], 0   // 00000000C7DC: D3F30008 1A020128
	s_add_u32 s24, s92, s71                                    // 00000000C7E4: 8018475C
	s_addc_u32 s25, s93, 0                                     // 00000000C7E8: 8219805D
	v_mfma_f32_16x16x32_fp8_fp8 v[8:11], a[42:43], a[2:3], v[8:11]// 00000000C7EC: D3F30008 1C22052A
	s_mul_i32 s69, s59, s50                                    // 00000000C7F4: 9245323B
	s_mul_i32 s71, s59, s66                                    // 00000000C7F8: 9247423B
	v_mfma_f32_16x16x32_fp8_fp8 v[8:11], a[44:45], a[4:5], v[8:11]// 00000000C7FC: D3F30008 1C22092C
	buffer_load_dwordx4 a[68:71], v226, s[12:15], 0 offen      // 00000000C804: E05C1000 808344E2
	v_mfma_f32_16x16x32_fp8_fp8 v[8:11], a[46:47], a[6:7], v[8:11]// 00000000C80C: D3F30008 1C220D2E
	s_mul_i32 s54, s78, s51                                    // 00000000C814: 9236334E
	s_add_u32 s69, s69, s54                                    // 00000000C818: 80453645
	v_mfma_f32_16x16x32_fp8_fp8 v[12:15], a[48:49], a[0:1], 0  // 00000000C81C: D3F3000C 1A020130
	s_mov_b32 s70, s69                                         // 00000000C824: BEC60045
	v_mfma_f32_16x16x32_fp8_fp8 v[12:15], a[50:51], a[2:3], v[12:15]// 00000000C828: D3F3000C 1C320532
	s_mul_i32 s54, s78, s100                                   // 00000000C830: 9236644E
	s_add_u32 s71, s71, s54                                    // 00000000C834: 80473647
	v_mfma_f32_16x16x32_fp8_fp8 v[12:15], a[52:53], a[4:5], v[12:15]// 00000000C838: D3F3000C 1C320934
	buffer_load_dwordx4 a[72:75], v225, s[12:15], 0 offen offset:1024// 00000000C840: E05C1400 808348E1
	v_mfma_f32_16x16x32_fp8_fp8 v[12:15], a[54:55], a[6:7], v[12:15]// 00000000C848: D3F3000C 1C320D36
	v_mfma_f32_16x16x32_fp8_fp8 v[16:19], a[56:57], a[0:1], 0  // 00000000C850: D3F30010 1A020138
	v_mfma_f32_16x16x32_fp8_fp8 v[16:19], a[58:59], a[2:3], v[16:19]// 00000000C858: D3F30010 1C42053A
	v_mfma_f32_16x16x32_fp8_fp8 v[16:19], a[60:61], a[4:5], v[16:19]// 00000000C860: D3F30010 1C42093C
	buffer_load_dwordx4 a[76:79], v226, s[12:15], 0 offen offset:1024// 00000000C868: E05C1400 80834CE2
	v_mfma_f32_16x16x32_fp8_fp8 v[16:19], a[62:63], a[6:7], v[16:19]// 00000000C870: D3F30010 1C420D3E
	v_mfma_f32_16x16x32_fp8_fp8 v[20:23], a[32:33], a[8:9], 0  // 00000000C878: D3F30014 1A021120
	v_mfma_f32_16x16x32_fp8_fp8 v[20:23], a[34:35], a[10:11], v[20:23]// 00000000C880: D3F30014 1C521522
	v_mfma_f32_16x16x32_fp8_fp8 v[20:23], a[36:37], a[12:13], v[20:23]// 00000000C888: D3F30014 1C521924
	buffer_load_dwordx4 a[80:83], v225, s[12:15], 0 offen offset:2048// 00000000C890: E05C1800 808350E1
	v_mfma_f32_16x16x32_fp8_fp8 v[20:23], a[38:39], a[14:15], v[20:23]// 00000000C898: D3F30014 1C521D26
	v_mfma_f32_16x16x32_fp8_fp8 v[24:27], a[40:41], a[8:9], 0  // 00000000C8A0: D3F30018 1A021128
	v_mfma_f32_16x16x32_fp8_fp8 v[24:27], a[42:43], a[10:11], v[24:27]// 00000000C8A8: D3F30018 1C62152A
	v_mfma_f32_16x16x32_fp8_fp8 v[24:27], a[44:45], a[12:13], v[24:27]// 00000000C8B0: D3F30018 1C62192C
	buffer_load_dwordx4 a[84:87], v226, s[12:15], 0 offen offset:2048// 00000000C8B8: E05C1800 808354E2
	v_mfma_f32_16x16x32_fp8_fp8 v[24:27], a[46:47], a[14:15], v[24:27]// 00000000C8C0: D3F30018 1C621D2E
	v_mfma_f32_16x16x32_fp8_fp8 v[28:31], a[48:49], a[8:9], 0  // 00000000C8C8: D3F3001C 1A021130
	v_mfma_f32_16x16x32_fp8_fp8 v[28:31], a[50:51], a[10:11], v[28:31]// 00000000C8D0: D3F3001C 1C721532
	v_mfma_f32_16x16x32_fp8_fp8 v[28:31], a[52:53], a[12:13], v[28:31]// 00000000C8D8: D3F3001C 1C721934
	buffer_load_dwordx4 a[88:91], v225, s[12:15], 0 offen offset:3072// 00000000C8E0: E05C1C00 808358E1
	v_mfma_f32_16x16x32_fp8_fp8 v[28:31], a[54:55], a[14:15], v[28:31]// 00000000C8E8: D3F3001C 1C721D36
	v_mfma_f32_16x16x32_fp8_fp8 v[32:35], a[56:57], a[8:9], 0  // 00000000C8F0: D3F30020 1A021138
	v_mfma_f32_16x16x32_fp8_fp8 v[32:35], a[58:59], a[10:11], v[32:35]// 00000000C8F8: D3F30020 1C82153A
	v_mfma_f32_16x16x32_fp8_fp8 v[32:35], a[60:61], a[12:13], v[32:35]// 00000000C900: D3F30020 1C82193C
	buffer_load_dwordx4 a[92:95], v226, s[12:15], 0 offen offset:3072// 00000000C908: E05C1C00 80835CE2
	v_mfma_f32_16x16x32_fp8_fp8 v[32:35], a[62:63], a[14:15], v[32:35]// 00000000C910: D3F30020 1C821D3E
	v_mfma_f32_16x16x32_fp8_fp8 v[36:39], a[32:33], a[16:17], 0// 00000000C918: D3F30024 1A022120
	v_mfma_f32_16x16x32_fp8_fp8 v[36:39], a[34:35], a[18:19], v[36:39]// 00000000C920: D3F30024 1C922522
	v_mfma_f32_16x16x32_fp8_fp8 v[36:39], a[36:37], a[20:21], v[36:39]// 00000000C928: D3F30024 1C922924
	v_mfma_f32_16x16x32_fp8_fp8 v[36:39], a[38:39], a[22:23], v[36:39]// 00000000C930: D3F30024 1C922D26
	v_mfma_f32_16x16x32_fp8_fp8 v[40:43], a[40:41], a[16:17], 0// 00000000C938: D3F30028 1A022128
	v_mfma_f32_16x16x32_fp8_fp8 v[40:43], a[42:43], a[18:19], v[40:43]// 00000000C940: D3F30028 1CA2252A
	v_mfma_f32_16x16x32_fp8_fp8 v[40:43], a[44:45], a[20:21], v[40:43]// 00000000C948: D3F30028 1CA2292C
	v_mfma_f32_16x16x32_fp8_fp8 v[40:43], a[46:47], a[22:23], v[40:43]// 00000000C950: D3F30028 1CA22D2E
	v_mfma_f32_16x16x32_fp8_fp8 v[44:47], a[48:49], a[16:17], 0// 00000000C958: D3F3002C 1A022130
	v_mfma_f32_16x16x32_fp8_fp8 v[44:47], a[50:51], a[18:19], v[44:47]// 00000000C960: D3F3002C 1CB22532
	v_mfma_f32_16x16x32_fp8_fp8 v[44:47], a[52:53], a[20:21], v[44:47]// 00000000C968: D3F3002C 1CB22934
	v_mfma_f32_16x16x32_fp8_fp8 v[44:47], a[54:55], a[22:23], v[44:47]// 00000000C970: D3F3002C 1CB22D36
	v_mfma_f32_16x16x32_fp8_fp8 v[48:51], a[56:57], a[16:17], 0// 00000000C978: D3F30030 1A022138
	v_mfma_f32_16x16x32_fp8_fp8 v[48:51], a[58:59], a[18:19], v[48:51]// 00000000C980: D3F30030 1CC2253A
	v_mfma_f32_16x16x32_fp8_fp8 v[48:51], a[60:61], a[20:21], v[48:51]// 00000000C988: D3F30030 1CC2293C
	v_mfma_f32_16x16x32_fp8_fp8 v[48:51], a[62:63], a[22:23], v[48:51]// 00000000C990: D3F30030 1CC22D3E
	v_mfma_f32_16x16x32_fp8_fp8 v[52:55], a[32:33], a[24:25], 0// 00000000C998: D3F30034 1A023120
	v_mfma_f32_16x16x32_fp8_fp8 v[52:55], a[34:35], a[26:27], v[52:55]// 00000000C9A0: D3F30034 1CD23522
	v_mfma_f32_16x16x32_fp8_fp8 v[52:55], a[36:37], a[28:29], v[52:55]// 00000000C9A8: D3F30034 1CD23924
	v_mfma_f32_16x16x32_fp8_fp8 v[52:55], a[38:39], a[30:31], v[52:55]// 00000000C9B0: D3F30034 1CD23D26
	v_mfma_f32_16x16x32_fp8_fp8 v[56:59], a[40:41], a[24:25], 0// 00000000C9B8: D3F30038 1A023128
	v_mfma_f32_16x16x32_fp8_fp8 v[56:59], a[42:43], a[26:27], v[56:59]// 00000000C9C0: D3F30038 1CE2352A
	v_mfma_f32_16x16x32_fp8_fp8 v[56:59], a[44:45], a[28:29], v[56:59]// 00000000C9C8: D3F30038 1CE2392C
	v_mfma_f32_16x16x32_fp8_fp8 v[56:59], a[46:47], a[30:31], v[56:59]// 00000000C9D0: D3F30038 1CE23D2E
	v_mfma_f32_16x16x32_fp8_fp8 v[60:63], a[48:49], a[24:25], 0// 00000000C9D8: D3F3003C 1A023130
	v_mfma_f32_16x16x32_fp8_fp8 v[60:63], a[50:51], a[26:27], v[60:63]// 00000000C9E0: D3F3003C 1CF23532
	v_mfma_f32_16x16x32_fp8_fp8 v[60:63], a[52:53], a[28:29], v[60:63]// 00000000C9E8: D3F3003C 1CF23934
	v_mfma_f32_16x16x32_fp8_fp8 v[60:63], a[54:55], a[30:31], v[60:63]// 00000000C9F0: D3F3003C 1CF23D36
	v_mfma_f32_16x16x32_fp8_fp8 v[64:67], a[56:57], a[24:25], 0// 00000000C9F8: D3F30040 1A023138
	v_mfma_f32_16x16x32_fp8_fp8 v[64:67], a[58:59], a[26:27], v[64:67]// 00000000CA00: D3F30040 1D02353A
	v_mfma_f32_16x16x32_fp8_fp8 v[64:67], a[60:61], a[28:29], v[64:67]// 00000000CA08: D3F30040 1D02393C
	v_mfma_f32_16x16x32_fp8_fp8 v[64:67], a[62:63], a[30:31], v[64:67]// 00000000CA10: D3F30040 1D023D3E
	s_waitcnt vmcnt(16)                                        // 00000000CA18: BF8C4F70
	v_pk_mul_f32 v[4:5], v[132:133], v[4:5]                    // 00000000CA1C: D3B14004 18020984
	v_pk_mul_f32 v[6:7], v[132:133], v[6:7]                    // 00000000CA24: D3B14006 18020D84
	v_mul_f32_dpp v4, v140, v4 row_newbcast:0 row_mask:0xf bank_mask:0xf// 00000000CA2C: 0A0808FA FF01508C
	v_mul_f32_dpp v5, v140, v5 row_newbcast:1 row_mask:0xf bank_mask:0xf// 00000000CA34: 0A0A0AFA FF01518C
	v_mul_f32_dpp v6, v140, v6 row_newbcast:2 row_mask:0xf bank_mask:0xf// 00000000CA3C: 0A0C0CFA FF01528C
	v_mul_f32_dpp v7, v140, v7 row_newbcast:3 row_mask:0xf bank_mask:0xf// 00000000CA44: 0A0E0EFA FF01538C
	v_pk_mul_f32 v[8:9], v[132:133], v[8:9]                    // 00000000CA4C: D3B14008 18021184
	v_pk_mul_f32 v[10:11], v[132:133], v[10:11]                // 00000000CA54: D3B1400A 18021584
	v_mul_f32_dpp v8, v140, v8 row_newbcast:4 row_mask:0xf bank_mask:0xf// 00000000CA5C: 0A1010FA FF01548C
	v_mul_f32_dpp v9, v140, v9 row_newbcast:5 row_mask:0xf bank_mask:0xf// 00000000CA64: 0A1212FA FF01558C
	v_mul_f32_dpp v10, v140, v10 row_newbcast:6 row_mask:0xf bank_mask:0xf// 00000000CA6C: 0A1414FA FF01568C
	v_mul_f32_dpp v11, v140, v11 row_newbcast:7 row_mask:0xf bank_mask:0xf// 00000000CA74: 0A1616FA FF01578C
	v_pk_mul_f32 v[12:13], v[132:133], v[12:13]                // 00000000CA7C: D3B1400C 18021984
	v_pk_mul_f32 v[14:15], v[132:133], v[14:15]                // 00000000CA84: D3B1400E 18021D84
	v_mul_f32_dpp v12, v140, v12 row_newbcast:8 row_mask:0xf bank_mask:0xf// 00000000CA8C: 0A1818FA FF01588C
	v_mul_f32_dpp v13, v140, v13 row_newbcast:9 row_mask:0xf bank_mask:0xf// 00000000CA94: 0A1A1AFA FF01598C
	v_mul_f32_dpp v14, v140, v14 row_newbcast:10 row_mask:0xf bank_mask:0xf// 00000000CA9C: 0A1C1CFA FF015A8C
	v_mul_f32_dpp v15, v140, v15 row_newbcast:11 row_mask:0xf bank_mask:0xf// 00000000CAA4: 0A1E1EFA FF015B8C
	v_pk_mul_f32 v[16:17], v[132:133], v[16:17]                // 00000000CAAC: D3B14010 18022184
	v_pk_mul_f32 v[18:19], v[132:133], v[18:19]                // 00000000CAB4: D3B14012 18022584
	v_mul_f32_dpp v16, v140, v16 row_newbcast:12 row_mask:0xf bank_mask:0xf// 00000000CABC: 0A2020FA FF015C8C
	v_mul_f32_dpp v17, v140, v17 row_newbcast:13 row_mask:0xf bank_mask:0xf// 00000000CAC4: 0A2222FA FF015D8C
	v_mul_f32_dpp v18, v140, v18 row_newbcast:14 row_mask:0xf bank_mask:0xf// 00000000CACC: 0A2424FA FF015E8C
	v_mul_f32_dpp v19, v140, v19 row_newbcast:15 row_mask:0xf bank_mask:0xf// 00000000CAD4: 0A2626FA FF015F8C
	v_pk_mul_f32 v[20:21], v[134:135], v[20:21]                // 00000000CADC: D3B14014 18022986
	v_pk_mul_f32 v[22:23], v[134:135], v[22:23]                // 00000000CAE4: D3B14016 18022D86
	v_mul_f32_dpp v20, v140, v20 row_newbcast:0 row_mask:0xf bank_mask:0xf// 00000000CAEC: 0A2828FA FF01508C
	v_mul_f32_dpp v21, v140, v21 row_newbcast:1 row_mask:0xf bank_mask:0xf// 00000000CAF4: 0A2A2AFA FF01518C
	v_mul_f32_dpp v22, v140, v22 row_newbcast:2 row_mask:0xf bank_mask:0xf// 00000000CAFC: 0A2C2CFA FF01528C
	v_mul_f32_dpp v23, v140, v23 row_newbcast:3 row_mask:0xf bank_mask:0xf// 00000000CB04: 0A2E2EFA FF01538C
	v_pk_mul_f32 v[24:25], v[134:135], v[24:25]                // 00000000CB0C: D3B14018 18023186
	v_pk_mul_f32 v[26:27], v[134:135], v[26:27]                // 00000000CB14: D3B1401A 18023586
	v_mul_f32_dpp v24, v140, v24 row_newbcast:4 row_mask:0xf bank_mask:0xf// 00000000CB1C: 0A3030FA FF01548C
	v_mul_f32_dpp v25, v140, v25 row_newbcast:5 row_mask:0xf bank_mask:0xf// 00000000CB24: 0A3232FA FF01558C
	v_mul_f32_dpp v26, v140, v26 row_newbcast:6 row_mask:0xf bank_mask:0xf// 00000000CB2C: 0A3434FA FF01568C
	v_mul_f32_dpp v27, v140, v27 row_newbcast:7 row_mask:0xf bank_mask:0xf// 00000000CB34: 0A3636FA FF01578C
	v_pk_mul_f32 v[28:29], v[134:135], v[28:29]                // 00000000CB3C: D3B1401C 18023986
	v_pk_mul_f32 v[30:31], v[134:135], v[30:31]                // 00000000CB44: D3B1401E 18023D86
	v_mul_f32_dpp v28, v140, v28 row_newbcast:8 row_mask:0xf bank_mask:0xf// 00000000CB4C: 0A3838FA FF01588C
	v_mul_f32_dpp v29, v140, v29 row_newbcast:9 row_mask:0xf bank_mask:0xf// 00000000CB54: 0A3A3AFA FF01598C
	v_mul_f32_dpp v30, v140, v30 row_newbcast:10 row_mask:0xf bank_mask:0xf// 00000000CB5C: 0A3C3CFA FF015A8C
	v_mul_f32_dpp v31, v140, v31 row_newbcast:11 row_mask:0xf bank_mask:0xf// 00000000CB64: 0A3E3EFA FF015B8C
	v_pk_mul_f32 v[32:33], v[134:135], v[32:33]                // 00000000CB6C: D3B14020 18024186
	v_pk_mul_f32 v[34:35], v[134:135], v[34:35]                // 00000000CB74: D3B14022 18024586
	v_mul_f32_dpp v32, v140, v32 row_newbcast:12 row_mask:0xf bank_mask:0xf// 00000000CB7C: 0A4040FA FF015C8C
	v_mul_f32_dpp v33, v140, v33 row_newbcast:13 row_mask:0xf bank_mask:0xf// 00000000CB84: 0A4242FA FF015D8C
	v_mul_f32_dpp v34, v140, v34 row_newbcast:14 row_mask:0xf bank_mask:0xf// 00000000CB8C: 0A4444FA FF015E8C
	v_mul_f32_dpp v35, v140, v35 row_newbcast:15 row_mask:0xf bank_mask:0xf// 00000000CB94: 0A4646FA FF015F8C
	v_pk_mul_f32 v[36:37], v[136:137], v[36:37]                // 00000000CB9C: D3B14024 18024988
	v_pk_mul_f32 v[38:39], v[136:137], v[38:39]                // 00000000CBA4: D3B14026 18024D88
	v_mul_f32_dpp v36, v140, v36 row_newbcast:0 row_mask:0xf bank_mask:0xf// 00000000CBAC: 0A4848FA FF01508C
	v_mul_f32_dpp v37, v140, v37 row_newbcast:1 row_mask:0xf bank_mask:0xf// 00000000CBB4: 0A4A4AFA FF01518C
	v_mul_f32_dpp v38, v140, v38 row_newbcast:2 row_mask:0xf bank_mask:0xf// 00000000CBBC: 0A4C4CFA FF01528C
	v_mul_f32_dpp v39, v140, v39 row_newbcast:3 row_mask:0xf bank_mask:0xf// 00000000CBC4: 0A4E4EFA FF01538C
	v_pk_mul_f32 v[40:41], v[136:137], v[40:41]                // 00000000CBCC: D3B14028 18025188
	v_pk_mul_f32 v[42:43], v[136:137], v[42:43]                // 00000000CBD4: D3B1402A 18025588
	v_mul_f32_dpp v40, v140, v40 row_newbcast:4 row_mask:0xf bank_mask:0xf// 00000000CBDC: 0A5050FA FF01548C
	v_mul_f32_dpp v41, v140, v41 row_newbcast:5 row_mask:0xf bank_mask:0xf// 00000000CBE4: 0A5252FA FF01558C
	v_mul_f32_dpp v42, v140, v42 row_newbcast:6 row_mask:0xf bank_mask:0xf// 00000000CBEC: 0A5454FA FF01568C
	v_mul_f32_dpp v43, v140, v43 row_newbcast:7 row_mask:0xf bank_mask:0xf// 00000000CBF4: 0A5656FA FF01578C
	v_pk_mul_f32 v[44:45], v[136:137], v[44:45]                // 00000000CBFC: D3B1402C 18025988
	v_pk_mul_f32 v[46:47], v[136:137], v[46:47]                // 00000000CC04: D3B1402E 18025D88
	v_mul_f32_dpp v44, v140, v44 row_newbcast:8 row_mask:0xf bank_mask:0xf// 00000000CC0C: 0A5858FA FF01588C
	v_mul_f32_dpp v45, v140, v45 row_newbcast:9 row_mask:0xf bank_mask:0xf// 00000000CC14: 0A5A5AFA FF01598C
	v_mul_f32_dpp v46, v140, v46 row_newbcast:10 row_mask:0xf bank_mask:0xf// 00000000CC1C: 0A5C5CFA FF015A8C
	v_mul_f32_dpp v47, v140, v47 row_newbcast:11 row_mask:0xf bank_mask:0xf// 00000000CC24: 0A5E5EFA FF015B8C
	v_pk_mul_f32 v[48:49], v[136:137], v[48:49]                // 00000000CC2C: D3B14030 18026188
	v_pk_mul_f32 v[50:51], v[136:137], v[50:51]                // 00000000CC34: D3B14032 18026588
	v_mul_f32_dpp v48, v140, v48 row_newbcast:12 row_mask:0xf bank_mask:0xf// 00000000CC3C: 0A6060FA FF015C8C
	v_mul_f32_dpp v49, v140, v49 row_newbcast:13 row_mask:0xf bank_mask:0xf// 00000000CC44: 0A6262FA FF015D8C
	v_mul_f32_dpp v50, v140, v50 row_newbcast:14 row_mask:0xf bank_mask:0xf// 00000000CC4C: 0A6464FA FF015E8C
	v_mul_f32_dpp v51, v140, v51 row_newbcast:15 row_mask:0xf bank_mask:0xf// 00000000CC54: 0A6666FA FF015F8C
	v_pk_mul_f32 v[52:53], v[138:139], v[52:53]                // 00000000CC5C: D3B14034 1802698A
	v_pk_mul_f32 v[54:55], v[138:139], v[54:55]                // 00000000CC64: D3B14036 18026D8A
	v_mul_f32_dpp v52, v140, v52 row_newbcast:0 row_mask:0xf bank_mask:0xf// 00000000CC6C: 0A6868FA FF01508C
	v_mul_f32_dpp v53, v140, v53 row_newbcast:1 row_mask:0xf bank_mask:0xf// 00000000CC74: 0A6A6AFA FF01518C
	v_mul_f32_dpp v54, v140, v54 row_newbcast:2 row_mask:0xf bank_mask:0xf// 00000000CC7C: 0A6C6CFA FF01528C
	v_mul_f32_dpp v55, v140, v55 row_newbcast:3 row_mask:0xf bank_mask:0xf// 00000000CC84: 0A6E6EFA FF01538C
	v_pk_mul_f32 v[56:57], v[138:139], v[56:57]                // 00000000CC8C: D3B14038 1802718A
	v_pk_mul_f32 v[58:59], v[138:139], v[58:59]                // 00000000CC94: D3B1403A 1802758A
	v_mul_f32_dpp v56, v140, v56 row_newbcast:4 row_mask:0xf bank_mask:0xf// 00000000CC9C: 0A7070FA FF01548C
	v_mul_f32_dpp v57, v140, v57 row_newbcast:5 row_mask:0xf bank_mask:0xf// 00000000CCA4: 0A7272FA FF01558C
	v_mul_f32_dpp v58, v140, v58 row_newbcast:6 row_mask:0xf bank_mask:0xf// 00000000CCAC: 0A7474FA FF01568C
	v_mul_f32_dpp v59, v140, v59 row_newbcast:7 row_mask:0xf bank_mask:0xf// 00000000CCB4: 0A7676FA FF01578C
	v_pk_mul_f32 v[60:61], v[138:139], v[60:61]                // 00000000CCBC: D3B1403C 1802798A
	v_pk_mul_f32 v[62:63], v[138:139], v[62:63]                // 00000000CCC4: D3B1403E 18027D8A
	v_mul_f32_dpp v60, v140, v60 row_newbcast:8 row_mask:0xf bank_mask:0xf// 00000000CCCC: 0A7878FA FF01588C
	v_mul_f32_dpp v61, v140, v61 row_newbcast:9 row_mask:0xf bank_mask:0xf// 00000000CCD4: 0A7A7AFA FF01598C
	v_mul_f32_dpp v62, v140, v62 row_newbcast:10 row_mask:0xf bank_mask:0xf// 00000000CCDC: 0A7C7CFA FF015A8C
	v_mul_f32_dpp v63, v140, v63 row_newbcast:11 row_mask:0xf bank_mask:0xf// 00000000CCE4: 0A7E7EFA FF015B8C
	v_pk_mul_f32 v[64:65], v[138:139], v[64:65]                // 00000000CCEC: D3B14040 1802818A
	v_pk_mul_f32 v[66:67], v[138:139], v[66:67]                // 00000000CCF4: D3B14042 1802858A
	v_mul_f32_dpp v64, v140, v64 row_newbcast:12 row_mask:0xf bank_mask:0xf// 00000000CCFC: 0A8080FA FF015C8C
	v_mul_f32_dpp v65, v140, v65 row_newbcast:13 row_mask:0xf bank_mask:0xf// 00000000CD04: 0A8282FA FF015D8C
	v_mul_f32_dpp v66, v140, v66 row_newbcast:14 row_mask:0xf bank_mask:0xf// 00000000CD0C: 0A8484FA FF015E8C
	v_mul_f32_dpp v67, v140, v67 row_newbcast:15 row_mask:0xf bank_mask:0xf// 00000000CD14: 0A8686FA FF015F8C
	v_mov_b32_e32 v176, v4                                     // 00000000CD1C: 7F600304
	v_max3_f32 v176, v4, v5, v176                              // 00000000CD20: D1D300B0 06C20B04
	v_max3_f32 v176, v6, v7, v176                              // 00000000CD28: D1D300B0 06C20F06
	v_max3_f32 v176, v8, v9, v176                              // 00000000CD30: D1D300B0 06C21308
	v_max3_f32 v176, v10, v11, v176                            // 00000000CD38: D1D300B0 06C2170A
	v_max3_f32 v176, v12, v13, v176                            // 00000000CD40: D1D300B0 06C21B0C
	v_max3_f32 v176, v14, v15, v176                            // 00000000CD48: D1D300B0 06C21F0E
	v_max3_f32 v176, v16, v17, v176                            // 00000000CD50: D1D300B0 06C22310
	v_max3_f32 v176, v18, v19, v176                            // 00000000CD58: D1D300B0 06C22712
	v_mov_b32_e32 v177, v20                                    // 00000000CD60: 7F620314
	v_max3_f32 v177, v20, v21, v177                            // 00000000CD64: D1D300B1 06C62B14
	v_max3_f32 v177, v22, v23, v177                            // 00000000CD6C: D1D300B1 06C62F16
	v_max3_f32 v177, v24, v25, v177                            // 00000000CD74: D1D300B1 06C63318
	v_max3_f32 v177, v26, v27, v177                            // 00000000CD7C: D1D300B1 06C6371A
	v_max3_f32 v177, v28, v29, v177                            // 00000000CD84: D1D300B1 06C63B1C
	v_max3_f32 v177, v30, v31, v177                            // 00000000CD8C: D1D300B1 06C63F1E
	v_max3_f32 v177, v32, v33, v177                            // 00000000CD94: D1D300B1 06C64320
	v_max3_f32 v177, v34, v35, v177                            // 00000000CD9C: D1D300B1 06C64722
	v_mov_b32_e32 v178, v36                                    // 00000000CDA4: 7F640324
	v_max3_f32 v178, v36, v37, v178                            // 00000000CDA8: D1D300B2 06CA4B24
	v_max3_f32 v178, v38, v39, v178                            // 00000000CDB0: D1D300B2 06CA4F26
	v_max3_f32 v178, v40, v41, v178                            // 00000000CDB8: D1D300B2 06CA5328
	v_max3_f32 v178, v42, v43, v178                            // 00000000CDC0: D1D300B2 06CA572A
	v_max3_f32 v178, v44, v45, v178                            // 00000000CDC8: D1D300B2 06CA5B2C
	v_max3_f32 v178, v46, v47, v178                            // 00000000CDD0: D1D300B2 06CA5F2E
	v_max3_f32 v178, v48, v49, v178                            // 00000000CDD8: D1D300B2 06CA6330
	v_max3_f32 v178, v50, v51, v178                            // 00000000CDE0: D1D300B2 06CA6732
	v_mov_b32_e32 v179, v52                                    // 00000000CDE8: 7F660334
	v_max3_f32 v179, v52, v53, v179                            // 00000000CDEC: D1D300B3 06CE6B34
	v_max3_f32 v179, v54, v55, v179                            // 00000000CDF4: D1D300B3 06CE6F36
	v_max3_f32 v179, v56, v57, v179                            // 00000000CDFC: D1D300B3 06CE7338
	v_max3_f32 v179, v58, v59, v179                            // 00000000CE04: D1D300B3 06CE773A
	v_max3_f32 v179, v60, v61, v179                            // 00000000CE0C: D1D300B3 06CE7B3C
	v_max3_f32 v179, v62, v63, v179                            // 00000000CE14: D1D300B3 06CE7F3E
	v_max3_f32 v179, v64, v65, v179                            // 00000000CE1C: D1D300B3 06CE8340
	v_max3_f32 v179, v66, v67, v179                            // 00000000CE24: D1D300B3 06CE8742
	v_pk_mul_f32 v[100:101], v[160:161], v[100:101]            // 00000000CE2C: D3B14064 1802C9A0
	v_pk_mul_f32 v[102:103], v[160:161], v[102:103]            // 00000000CE34: D3B14066 1802CDA0
	v_pk_mul_f32 v[104:105], v[160:161], v[104:105]            // 00000000CE3C: D3B14068 1802D1A0
	v_pk_mul_f32 v[106:107], v[160:161], v[106:107]            // 00000000CE44: D3B1406A 1802D5A0
	v_pk_mul_f32 v[108:109], v[162:163], v[108:109]            // 00000000CE4C: D3B1406C 1802D9A2
	v_pk_mul_f32 v[110:111], v[162:163], v[110:111]            // 00000000CE54: D3B1406E 1802DDA2
	v_pk_mul_f32 v[112:113], v[162:163], v[112:113]            // 00000000CE5C: D3B14070 1802E1A2
	v_pk_mul_f32 v[114:115], v[162:163], v[114:115]            // 00000000CE64: D3B14072 1802E5A2
	v_pk_mul_f32 v[116:117], v[164:165], v[116:117]            // 00000000CE6C: D3B14074 1802E9A4
	v_pk_mul_f32 v[118:119], v[164:165], v[118:119]            // 00000000CE74: D3B14076 1802EDA4
	v_pk_mul_f32 v[120:121], v[164:165], v[120:121]            // 00000000CE7C: D3B14078 1802F1A4
	v_pk_mul_f32 v[122:123], v[164:165], v[122:123]            // 00000000CE84: D3B1407A 1802F5A4
	v_pk_mul_f32 v[124:125], v[166:167], v[124:125]            // 00000000CE8C: D3B1407C 1802F9A6
	v_pk_mul_f32 v[126:127], v[166:167], v[126:127]            // 00000000CE94: D3B1407E 1802FDA6
	v_pk_mul_f32 v[128:129], v[166:167], v[128:129]            // 00000000CE9C: D3B14080 180301A6
	v_pk_mul_f32 v[130:131], v[166:167], v[130:131]            // 00000000CEA4: D3B14082 180305A6
	ds_bpermute_b32 v180, v200, v176                           // 00000000CEAC: D87E0000 B400B0C8
	ds_bpermute_b32 v181, v201, v176                           // 00000000CEB4: D87E0000 B500B0C9
	ds_bpermute_b32 v182, v202, v176                           // 00000000CEBC: D87E0000 B600B0CA
	ds_bpermute_b32 v183, v200, v177                           // 00000000CEC4: D87E0000 B700B1C8
	ds_bpermute_b32 v184, v201, v177                           // 00000000CECC: D87E0000 B800B1C9
	ds_bpermute_b32 v185, v202, v177                           // 00000000CED4: D87E0000 B900B1CA
	ds_bpermute_b32 v186, v200, v178                           // 00000000CEDC: D87E0000 BA00B2C8
	ds_bpermute_b32 v187, v201, v178                           // 00000000CEE4: D87E0000 BB00B2C9
	ds_bpermute_b32 v188, v202, v178                           // 00000000CEEC: D87E0000 BC00B2CA
	ds_bpermute_b32 v189, v200, v179                           // 00000000CEF4: D87E0000 BD00B3C8
	ds_bpermute_b32 v190, v201, v179                           // 00000000CEFC: D87E0000 BE00B3C9
	ds_bpermute_b32 v191, v202, v179                           // 00000000CF04: D87E0000 BF00B3CA
	s_waitcnt lgkmcnt(9)                                       // 00000000CF0C: BF8CC97F
	v_max3_f32 v176, v180, v181, v176                          // 00000000CF10: D1D300B0 06C36BB4
	v_max_f32_e32 v176, v182, v176                             // 00000000CF18: 176161B6
	s_waitcnt lgkmcnt(6)                                       // 00000000CF1C: BF8CC67F
	v_max3_f32 v177, v183, v184, v177                          // 00000000CF20: D1D300B1 06C771B7
	v_max_f32_e32 v177, v185, v177                             // 00000000CF28: 176363B9
	s_waitcnt lgkmcnt(3)                                       // 00000000CF2C: BF8CC37F
	v_max3_f32 v178, v186, v187, v178                          // 00000000CF30: D1D300B2 06CB77BA
	v_max_f32_e32 v178, v188, v178                             // 00000000CF38: 176565BC
	s_waitcnt lgkmcnt(0)                                       // 00000000CF3C: BF8CC07F
	v_max3_f32 v179, v189, v190, v179                          // 00000000CF40: D1D300B3 06CF7DBD
	v_max_f32_e32 v179, v191, v179                             // 00000000CF48: 176767BF
	ds_write_b128 v247, v[176:179]                             // 00000000CF4C: D9BE0000 0000B0F7
	s_waitcnt lgkmcnt(0)                                       // 00000000CF54: BF8CC07F
	s_barrier                                                  // 00000000CF58: BF8A0000
	v_pk_mul_f32 v[68:69], v[144:145], v[68:69]                // 00000000CF5C: D3B14044 18028990
	v_pk_mul_f32 v[70:71], v[144:145], v[70:71]                // 00000000CF64: D3B14046 18028D90
	v_pk_mul_f32 v[72:73], v[144:145], v[72:73]                // 00000000CF6C: D3B14048 18029190
	v_pk_mul_f32 v[74:75], v[144:145], v[74:75]                // 00000000CF74: D3B1404A 18029590
	v_pk_mul_f32 v[76:77], v[146:147], v[76:77]                // 00000000CF7C: D3B1404C 18029992
	v_pk_mul_f32 v[78:79], v[146:147], v[78:79]                // 00000000CF84: D3B1404E 18029D92
	v_pk_mul_f32 v[80:81], v[146:147], v[80:81]                // 00000000CF8C: D3B14050 1802A192
	v_pk_mul_f32 v[82:83], v[146:147], v[82:83]                // 00000000CF94: D3B14052 1802A592
	v_pk_mul_f32 v[84:85], v[148:149], v[84:85]                // 00000000CF9C: D3B14054 1802A994
	v_pk_mul_f32 v[86:87], v[148:149], v[86:87]                // 00000000CFA4: D3B14056 1802AD94
	v_pk_mul_f32 v[88:89], v[148:149], v[88:89]                // 00000000CFAC: D3B14058 1802B194
	v_pk_mul_f32 v[90:91], v[148:149], v[90:91]                // 00000000CFB4: D3B1405A 1802B594
	v_pk_mul_f32 v[92:93], v[150:151], v[92:93]                // 00000000CFBC: D3B1405C 1802B996
	v_pk_mul_f32 v[94:95], v[150:151], v[94:95]                // 00000000CFC4: D3B1405E 1802BD96
	v_pk_mul_f32 v[96:97], v[150:151], v[96:97]                // 00000000CFCC: D3B14060 1802C196
	v_pk_mul_f32 v[98:99], v[150:151], v[98:99]                // 00000000CFD4: D3B14062 1802C596
	ds_read_b128 v[180:183], v248                              // 00000000CFDC: D9FE0000 B40000F8
	ds_read_b128 v[184:187], v248 offset:256                   // 00000000CFE4: D9FE0100 B80000F8
	ds_read_b128 v[188:191], v248 offset:512                   // 00000000CFEC: D9FE0200 BC0000F8
	ds_read_b128 v[192:195], v248 offset:768                   // 00000000CFF4: D9FE0300 C00000F8
	s_waitcnt lgkmcnt(0)                                       // 00000000CFFC: BF8CC07F
	v_max3_f32 v176, v180, v184, v176                          // 00000000D000: D1D300B0 06C371B4
	v_max3_f32 v177, v181, v185, v177                          // 00000000D008: D1D300B1 06C773B5
	v_max3_f32 v178, v182, v186, v178                          // 00000000D010: D1D300B2 06CB75B6
	v_max3_f32 v179, v183, v187, v179                          // 00000000D018: D1D300B3 06CF77B7
	v_max3_f32 v176, v188, v192, v176                          // 00000000D020: D1D300B0 06C381BC
	v_max3_f32 v177, v189, v193, v177                          // 00000000D028: D1D300B1 06C783BD
	v_max3_f32 v178, v190, v194, v178                          // 00000000D030: D1D300B2 06CB85BE
	v_max3_f32 v179, v191, v195, v179                          // 00000000D038: D1D300B3 06CF87BF
	v_max_f32_e32 v156, v176, v152                             // 00000000D040: 173931B0
	v_mul_f32_e64 v196, -s46, v156                             // 00000000D044: D10500C4 2003382E
	v_mov_b32_e32 v197, v196                                   // 00000000D04C: 7F8A03C4
	v_pk_fma_f32 v[4:5], v[4:5], s[46:47], v[196:197]          // 00000000D050: D3B04004 1F105D04
	v_pk_fma_f32 v[6:7], v[6:7], s[46:47], v[196:197]          // 00000000D058: D3B04006 1F105D06
	v_exp_f32_e32 v4, v4                                       // 00000000D060: 7E084104
	v_exp_f32_e32 v5, v5                                       // 00000000D064: 7E0A4105
	v_exp_f32_e32 v6, v6                                       // 00000000D068: 7E0C4106
	v_exp_f32_e32 v7, v7                                       // 00000000D06C: 7E0E4107
	v_pk_fma_f32 v[8:9], v[8:9], s[46:47], v[196:197]          // 00000000D070: D3B04008 1F105D08
	v_pk_fma_f32 v[10:11], v[10:11], s[46:47], v[196:197]      // 00000000D078: D3B0400A 1F105D0A
	v_exp_f32_e32 v8, v8                                       // 00000000D080: 7E104108
	v_exp_f32_e32 v9, v9                                       // 00000000D084: 7E124109
	v_exp_f32_e32 v10, v10                                     // 00000000D088: 7E14410A
	v_exp_f32_e32 v11, v11                                     // 00000000D08C: 7E16410B
	v_pk_fma_f32 v[12:13], v[12:13], s[46:47], v[196:197]      // 00000000D090: D3B0400C 1F105D0C
	v_pk_fma_f32 v[14:15], v[14:15], s[46:47], v[196:197]      // 00000000D098: D3B0400E 1F105D0E
	v_exp_f32_e32 v12, v12                                     // 00000000D0A0: 7E18410C
	v_exp_f32_e32 v13, v13                                     // 00000000D0A4: 7E1A410D
	v_exp_f32_e32 v14, v14                                     // 00000000D0A8: 7E1C410E
	v_exp_f32_e32 v15, v15                                     // 00000000D0AC: 7E1E410F
	v_pk_fma_f32 v[16:17], v[16:17], s[46:47], v[196:197]      // 00000000D0B0: D3B04010 1F105D10
	v_pk_fma_f32 v[18:19], v[18:19], s[46:47], v[196:197]      // 00000000D0B8: D3B04012 1F105D12
	v_exp_f32_e32 v16, v16                                     // 00000000D0C0: 7E204110
	v_exp_f32_e32 v17, v17                                     // 00000000D0C4: 7E224111
	v_exp_f32_e32 v18, v18                                     // 00000000D0C8: 7E244112
	v_exp_f32_e32 v19, v19                                     // 00000000D0CC: 7E264113
	v_max_f32_e32 v157, v177, v153                             // 00000000D0D0: 173B33B1
	v_mul_f32_e64 v196, -s46, v157                             // 00000000D0D4: D10500C4 20033A2E
	v_mov_b32_e32 v197, v196                                   // 00000000D0DC: 7F8A03C4
	v_pk_fma_f32 v[20:21], v[20:21], s[46:47], v[196:197]      // 00000000D0E0: D3B04014 1F105D14
	v_pk_fma_f32 v[22:23], v[22:23], s[46:47], v[196:197]      // 00000000D0E8: D3B04016 1F105D16
	v_exp_f32_e32 v20, v20                                     // 00000000D0F0: 7E284114
	v_exp_f32_e32 v21, v21                                     // 00000000D0F4: 7E2A4115
	v_exp_f32_e32 v22, v22                                     // 00000000D0F8: 7E2C4116
	v_exp_f32_e32 v23, v23                                     // 00000000D0FC: 7E2E4117
	v_pk_fma_f32 v[24:25], v[24:25], s[46:47], v[196:197]      // 00000000D100: D3B04018 1F105D18
	v_pk_fma_f32 v[26:27], v[26:27], s[46:47], v[196:197]      // 00000000D108: D3B0401A 1F105D1A
	v_exp_f32_e32 v24, v24                                     // 00000000D110: 7E304118
	v_exp_f32_e32 v25, v25                                     // 00000000D114: 7E324119
	v_exp_f32_e32 v26, v26                                     // 00000000D118: 7E34411A
	v_exp_f32_e32 v27, v27                                     // 00000000D11C: 7E36411B
	v_pk_fma_f32 v[28:29], v[28:29], s[46:47], v[196:197]      // 00000000D120: D3B0401C 1F105D1C
	v_pk_fma_f32 v[30:31], v[30:31], s[46:47], v[196:197]      // 00000000D128: D3B0401E 1F105D1E
	v_exp_f32_e32 v28, v28                                     // 00000000D130: 7E38411C
	v_exp_f32_e32 v29, v29                                     // 00000000D134: 7E3A411D
	v_exp_f32_e32 v30, v30                                     // 00000000D138: 7E3C411E
	v_exp_f32_e32 v31, v31                                     // 00000000D13C: 7E3E411F
	v_pk_fma_f32 v[32:33], v[32:33], s[46:47], v[196:197]      // 00000000D140: D3B04020 1F105D20
	v_pk_fma_f32 v[34:35], v[34:35], s[46:47], v[196:197]      // 00000000D148: D3B04022 1F105D22
	v_exp_f32_e32 v32, v32                                     // 00000000D150: 7E404120
	v_exp_f32_e32 v33, v33                                     // 00000000D154: 7E424121
	v_exp_f32_e32 v34, v34                                     // 00000000D158: 7E444122
	v_exp_f32_e32 v35, v35                                     // 00000000D15C: 7E464123
	v_max_f32_e32 v158, v178, v154                             // 00000000D160: 173D35B2
	v_mul_f32_e64 v196, -s46, v158                             // 00000000D164: D10500C4 20033C2E
	v_mov_b32_e32 v197, v196                                   // 00000000D16C: 7F8A03C4
	v_pk_fma_f32 v[36:37], v[36:37], s[46:47], v[196:197]      // 00000000D170: D3B04024 1F105D24
	v_pk_fma_f32 v[38:39], v[38:39], s[46:47], v[196:197]      // 00000000D178: D3B04026 1F105D26
	v_exp_f32_e32 v36, v36                                     // 00000000D180: 7E484124
	v_exp_f32_e32 v37, v37                                     // 00000000D184: 7E4A4125
	v_exp_f32_e32 v38, v38                                     // 00000000D188: 7E4C4126
	v_exp_f32_e32 v39, v39                                     // 00000000D18C: 7E4E4127
	v_pk_fma_f32 v[40:41], v[40:41], s[46:47], v[196:197]      // 00000000D190: D3B04028 1F105D28
	v_pk_fma_f32 v[42:43], v[42:43], s[46:47], v[196:197]      // 00000000D198: D3B0402A 1F105D2A
	v_exp_f32_e32 v40, v40                                     // 00000000D1A0: 7E504128
	v_exp_f32_e32 v41, v41                                     // 00000000D1A4: 7E524129
	v_exp_f32_e32 v42, v42                                     // 00000000D1A8: 7E54412A
	v_exp_f32_e32 v43, v43                                     // 00000000D1AC: 7E56412B
	v_pk_fma_f32 v[44:45], v[44:45], s[46:47], v[196:197]      // 00000000D1B0: D3B0402C 1F105D2C
	v_pk_fma_f32 v[46:47], v[46:47], s[46:47], v[196:197]      // 00000000D1B8: D3B0402E 1F105D2E
	v_exp_f32_e32 v44, v44                                     // 00000000D1C0: 7E58412C
	v_exp_f32_e32 v45, v45                                     // 00000000D1C4: 7E5A412D
	v_exp_f32_e32 v46, v46                                     // 00000000D1C8: 7E5C412E
	v_exp_f32_e32 v47, v47                                     // 00000000D1CC: 7E5E412F
	v_pk_fma_f32 v[48:49], v[48:49], s[46:47], v[196:197]      // 00000000D1D0: D3B04030 1F105D30
	v_pk_fma_f32 v[50:51], v[50:51], s[46:47], v[196:197]      // 00000000D1D8: D3B04032 1F105D32
	v_exp_f32_e32 v48, v48                                     // 00000000D1E0: 7E604130
	v_exp_f32_e32 v49, v49                                     // 00000000D1E4: 7E624131
	v_exp_f32_e32 v50, v50                                     // 00000000D1E8: 7E644132
	v_exp_f32_e32 v51, v51                                     // 00000000D1EC: 7E664133
	v_max_f32_e32 v159, v179, v155                             // 00000000D1F0: 173F37B3
	v_mul_f32_e64 v196, -s46, v159                             // 00000000D1F4: D10500C4 20033E2E
	v_mov_b32_e32 v197, v196                                   // 00000000D1FC: 7F8A03C4
	v_pk_fma_f32 v[52:53], v[52:53], s[46:47], v[196:197]      // 00000000D200: D3B04034 1F105D34
	v_pk_fma_f32 v[54:55], v[54:55], s[46:47], v[196:197]      // 00000000D208: D3B04036 1F105D36
	v_exp_f32_e32 v52, v52                                     // 00000000D210: 7E684134
	v_exp_f32_e32 v53, v53                                     // 00000000D214: 7E6A4135
	v_exp_f32_e32 v54, v54                                     // 00000000D218: 7E6C4136
	v_exp_f32_e32 v55, v55                                     // 00000000D21C: 7E6E4137
	v_pk_fma_f32 v[56:57], v[56:57], s[46:47], v[196:197]      // 00000000D220: D3B04038 1F105D38
	v_pk_fma_f32 v[58:59], v[58:59], s[46:47], v[196:197]      // 00000000D228: D3B0403A 1F105D3A
	v_exp_f32_e32 v56, v56                                     // 00000000D230: 7E704138
	v_exp_f32_e32 v57, v57                                     // 00000000D234: 7E724139
	v_exp_f32_e32 v58, v58                                     // 00000000D238: 7E74413A
	v_exp_f32_e32 v59, v59                                     // 00000000D23C: 7E76413B
	v_pk_fma_f32 v[60:61], v[60:61], s[46:47], v[196:197]      // 00000000D240: D3B0403C 1F105D3C
	v_pk_fma_f32 v[62:63], v[62:63], s[46:47], v[196:197]      // 00000000D248: D3B0403E 1F105D3E
	v_exp_f32_e32 v60, v60                                     // 00000000D250: 7E78413C
	v_exp_f32_e32 v61, v61                                     // 00000000D254: 7E7A413D
	v_exp_f32_e32 v62, v62                                     // 00000000D258: 7E7C413E
	v_exp_f32_e32 v63, v63                                     // 00000000D25C: 7E7E413F
	v_pk_fma_f32 v[64:65], v[64:65], s[46:47], v[196:197]      // 00000000D260: D3B04040 1F105D40
	v_pk_fma_f32 v[66:67], v[66:67], s[46:47], v[196:197]      // 00000000D268: D3B04042 1F105D42
	v_exp_f32_e32 v64, v64                                     // 00000000D270: 7E804140
	v_exp_f32_e32 v65, v65                                     // 00000000D274: 7E824141
	v_exp_f32_e32 v66, v66                                     // 00000000D278: 7E844142
	v_exp_f32_e32 v67, v67                                     // 00000000D27C: 7E864143
	v_sub_f32_e32 v160, v152, v156                             // 00000000D280: 05413998
	v_cmp_eq_u32_e64 s[98:99], v216, v152                      // 00000000D284: D0CA0062 000331D8
	v_cndmask_b32_e64 v160, v160, 0, s[98:99]                  // 00000000D28C: D10000A0 018901A0
	v_mov_b32_e32 v152, v156                                   // 00000000D294: 7F30039C
	v_mul_f32_e32 v160, s46, v160                              // 00000000D298: 0B41402E
	v_exp_f32_e32 v160, v160                                   // 00000000D29C: 7F4041A0
	v_sub_f32_e32 v162, v153, v157                             // 00000000D2A0: 05453B99
	v_cmp_eq_u32_e64 s[98:99], v216, v153                      // 00000000D2A4: D0CA0062 000333D8
	v_cndmask_b32_e64 v162, v162, 0, s[98:99]                  // 00000000D2AC: D10000A2 018901A2
	v_mov_b32_e32 v153, v157                                   // 00000000D2B4: 7F32039D
	v_mul_f32_e32 v162, s46, v162                              // 00000000D2B8: 0B45442E
	v_exp_f32_e32 v162, v162                                   // 00000000D2BC: 7F4441A2
	v_sub_f32_e32 v164, v154, v158                             // 00000000D2C0: 05493D9A
	v_cmp_eq_u32_e64 s[98:99], v216, v154                      // 00000000D2C4: D0CA0062 000335D8
	v_cndmask_b32_e64 v164, v164, 0, s[98:99]                  // 00000000D2CC: D10000A4 018901A4
	v_mov_b32_e32 v154, v158                                   // 00000000D2D4: 7F34039E
	v_mul_f32_e32 v164, s46, v164                              // 00000000D2D8: 0B49482E
	v_exp_f32_e32 v164, v164                                   // 00000000D2DC: 7F4841A4
	v_sub_f32_e32 v166, v155, v159                             // 00000000D2E0: 054D3F9B
	v_cmp_eq_u32_e64 s[98:99], v216, v155                      // 00000000D2E4: D0CA0062 000337D8
	v_cndmask_b32_e64 v166, v166, 0, s[98:99]                  // 00000000D2EC: D10000A6 018901A6
	v_mov_b32_e32 v155, v159                                   // 00000000D2F4: 7F36039F
	v_mul_f32_e32 v166, s46, v166                              // 00000000D2F8: 0B4D4C2E
	v_exp_f32_e32 v166, v166                                   // 00000000D2FC: 7F4C41A6
	v_mov_b32_e32 v161, v160                                   // 00000000D300: 7F4203A0
	v_mov_b32_e32 v163, v162                                   // 00000000D304: 7F4603A2
	v_mov_b32_e32 v165, v164                                   // 00000000D308: 7F4A03A4
	v_mov_b32_e32 v167, v166                                   // 00000000D30C: 7F4E03A6
	v_mul_f32_e32 v168, v160, v168                             // 00000000D310: 0B5151A0
	v_mov_b32_e32 v169, 0                                      // 00000000D314: 7F520280
	v_pk_add_f32 v[168:169], v[4:5], v[168:169]                // 00000000D318: D3B240A8 18035104
	v_pk_add_f32 v[168:169], v[6:7], v[168:169]                // 00000000D320: D3B240A8 18035106
	v_pk_add_f32 v[168:169], v[8:9], v[168:169]                // 00000000D328: D3B240A8 18035108
	v_pk_add_f32 v[168:169], v[10:11], v[168:169]              // 00000000D330: D3B240A8 1803510A
	v_pk_add_f32 v[168:169], v[12:13], v[168:169]              // 00000000D338: D3B240A8 1803510C
	v_pk_add_f32 v[168:169], v[14:15], v[168:169]              // 00000000D340: D3B240A8 1803510E
	v_pk_add_f32 v[168:169], v[16:17], v[168:169]              // 00000000D348: D3B240A8 18035110
	v_pk_add_f32 v[168:169], v[18:19], v[168:169]              // 00000000D350: D3B240A8 18035112
	v_add_f32_e32 v168, v169, v168                             // 00000000D358: 035151A9
	v_mul_f32_e32 v170, v162, v170                             // 00000000D35C: 0B5555A2
	v_mov_b32_e32 v171, 0                                      // 00000000D360: 7F560280
	v_pk_add_f32 v[170:171], v[20:21], v[170:171]              // 00000000D364: D3B240AA 18035514
	v_pk_add_f32 v[170:171], v[22:23], v[170:171]              // 00000000D36C: D3B240AA 18035516
	v_pk_add_f32 v[170:171], v[24:25], v[170:171]              // 00000000D374: D3B240AA 18035518
	v_pk_add_f32 v[170:171], v[26:27], v[170:171]              // 00000000D37C: D3B240AA 1803551A
	v_pk_add_f32 v[170:171], v[28:29], v[170:171]              // 00000000D384: D3B240AA 1803551C
	v_pk_add_f32 v[170:171], v[30:31], v[170:171]              // 00000000D38C: D3B240AA 1803551E
	v_pk_add_f32 v[170:171], v[32:33], v[170:171]              // 00000000D394: D3B240AA 18035520
	v_pk_add_f32 v[170:171], v[34:35], v[170:171]              // 00000000D39C: D3B240AA 18035522
	v_add_f32_e32 v170, v171, v170                             // 00000000D3A4: 035555AB
	v_mul_f32_e32 v172, v164, v172                             // 00000000D3A8: 0B5959A4
	v_mov_b32_e32 v173, 0                                      // 00000000D3AC: 7F5A0280
	v_pk_add_f32 v[172:173], v[36:37], v[172:173]              // 00000000D3B0: D3B240AC 18035924
	v_pk_add_f32 v[172:173], v[38:39], v[172:173]              // 00000000D3B8: D3B240AC 18035926
	v_pk_add_f32 v[172:173], v[40:41], v[172:173]              // 00000000D3C0: D3B240AC 18035928
	v_pk_add_f32 v[172:173], v[42:43], v[172:173]              // 00000000D3C8: D3B240AC 1803592A
	v_pk_add_f32 v[172:173], v[44:45], v[172:173]              // 00000000D3D0: D3B240AC 1803592C
	v_pk_add_f32 v[172:173], v[46:47], v[172:173]              // 00000000D3D8: D3B240AC 1803592E
	v_pk_add_f32 v[172:173], v[48:49], v[172:173]              // 00000000D3E0: D3B240AC 18035930
	v_pk_add_f32 v[172:173], v[50:51], v[172:173]              // 00000000D3E8: D3B240AC 18035932
	v_add_f32_e32 v172, v173, v172                             // 00000000D3F0: 035959AD
	v_mul_f32_e32 v174, v166, v174                             // 00000000D3F4: 0B5D5DA6
	v_mov_b32_e32 v175, 0                                      // 00000000D3F8: 7F5E0280
	v_pk_add_f32 v[174:175], v[52:53], v[174:175]              // 00000000D3FC: D3B240AE 18035D34
	v_pk_add_f32 v[174:175], v[54:55], v[174:175]              // 00000000D404: D3B240AE 18035D36
	v_pk_add_f32 v[174:175], v[56:57], v[174:175]              // 00000000D40C: D3B240AE 18035D38
	v_pk_add_f32 v[174:175], v[58:59], v[174:175]              // 00000000D414: D3B240AE 18035D3A
	v_pk_add_f32 v[174:175], v[60:61], v[174:175]              // 00000000D41C: D3B240AE 18035D3C
	v_pk_add_f32 v[174:175], v[62:63], v[174:175]              // 00000000D424: D3B240AE 18035D3E
	v_pk_add_f32 v[174:175], v[64:65], v[174:175]              // 00000000D42C: D3B240AE 18035D40
	v_pk_add_f32 v[174:175], v[66:67], v[174:175]              // 00000000D434: D3B240AE 18035D42
	v_add_f32_e32 v174, v175, v174                             // 00000000D43C: 035D5DAF
	v_mul_f32_dpp v4, v142, v4 row_newbcast:0 row_mask:0xf bank_mask:0xf// 00000000D440: 0A0808FA FF01508E
	v_mul_f32_dpp v5, v142, v5 row_newbcast:1 row_mask:0xf bank_mask:0xf// 00000000D448: 0A0A0AFA FF01518E
	v_mul_f32_dpp v6, v142, v6 row_newbcast:2 row_mask:0xf bank_mask:0xf// 00000000D450: 0A0C0CFA FF01528E
	v_mul_f32_dpp v7, v142, v7 row_newbcast:3 row_mask:0xf bank_mask:0xf// 00000000D458: 0A0E0EFA FF01538E
	v_mul_f32_dpp v8, v142, v8 row_newbcast:4 row_mask:0xf bank_mask:0xf// 00000000D460: 0A1010FA FF01548E
	v_mul_f32_dpp v9, v142, v9 row_newbcast:5 row_mask:0xf bank_mask:0xf// 00000000D468: 0A1212FA FF01558E
	v_mul_f32_dpp v10, v142, v10 row_newbcast:6 row_mask:0xf bank_mask:0xf// 00000000D470: 0A1414FA FF01568E
	v_mul_f32_dpp v11, v142, v11 row_newbcast:7 row_mask:0xf bank_mask:0xf// 00000000D478: 0A1616FA FF01578E
	v_mul_f32_dpp v12, v142, v12 row_newbcast:8 row_mask:0xf bank_mask:0xf// 00000000D480: 0A1818FA FF01588E
	v_mul_f32_dpp v13, v142, v13 row_newbcast:9 row_mask:0xf bank_mask:0xf// 00000000D488: 0A1A1AFA FF01598E
	v_mul_f32_dpp v14, v142, v14 row_newbcast:10 row_mask:0xf bank_mask:0xf// 00000000D490: 0A1C1CFA FF015A8E
	v_mul_f32_dpp v15, v142, v15 row_newbcast:11 row_mask:0xf bank_mask:0xf// 00000000D498: 0A1E1EFA FF015B8E
	v_mul_f32_dpp v16, v142, v16 row_newbcast:12 row_mask:0xf bank_mask:0xf// 00000000D4A0: 0A2020FA FF015C8E
	v_mul_f32_dpp v17, v142, v17 row_newbcast:13 row_mask:0xf bank_mask:0xf// 00000000D4A8: 0A2222FA FF015D8E
	v_mul_f32_dpp v18, v142, v18 row_newbcast:14 row_mask:0xf bank_mask:0xf// 00000000D4B0: 0A2424FA FF015E8E
	v_mul_f32_dpp v19, v142, v19 row_newbcast:15 row_mask:0xf bank_mask:0xf// 00000000D4B8: 0A2626FA FF015F8E
	v_mul_f32_dpp v20, v142, v20 row_newbcast:0 row_mask:0xf bank_mask:0xf// 00000000D4C0: 0A2828FA FF01508E
	v_mul_f32_dpp v21, v142, v21 row_newbcast:1 row_mask:0xf bank_mask:0xf// 00000000D4C8: 0A2A2AFA FF01518E
	v_mul_f32_dpp v22, v142, v22 row_newbcast:2 row_mask:0xf bank_mask:0xf// 00000000D4D0: 0A2C2CFA FF01528E
	v_mul_f32_dpp v23, v142, v23 row_newbcast:3 row_mask:0xf bank_mask:0xf// 00000000D4D8: 0A2E2EFA FF01538E
	v_mul_f32_dpp v24, v142, v24 row_newbcast:4 row_mask:0xf bank_mask:0xf// 00000000D4E0: 0A3030FA FF01548E
	v_mul_f32_dpp v25, v142, v25 row_newbcast:5 row_mask:0xf bank_mask:0xf// 00000000D4E8: 0A3232FA FF01558E
	v_mul_f32_dpp v26, v142, v26 row_newbcast:6 row_mask:0xf bank_mask:0xf// 00000000D4F0: 0A3434FA FF01568E
	v_mul_f32_dpp v27, v142, v27 row_newbcast:7 row_mask:0xf bank_mask:0xf// 00000000D4F8: 0A3636FA FF01578E
	v_mul_f32_dpp v28, v142, v28 row_newbcast:8 row_mask:0xf bank_mask:0xf// 00000000D500: 0A3838FA FF01588E
	v_mul_f32_dpp v29, v142, v29 row_newbcast:9 row_mask:0xf bank_mask:0xf// 00000000D508: 0A3A3AFA FF01598E
	v_mul_f32_dpp v30, v142, v30 row_newbcast:10 row_mask:0xf bank_mask:0xf// 00000000D510: 0A3C3CFA FF015A8E
	v_mul_f32_dpp v31, v142, v31 row_newbcast:11 row_mask:0xf bank_mask:0xf// 00000000D518: 0A3E3EFA FF015B8E
	v_mul_f32_dpp v32, v142, v32 row_newbcast:12 row_mask:0xf bank_mask:0xf// 00000000D520: 0A4040FA FF015C8E
	v_mul_f32_dpp v33, v142, v33 row_newbcast:13 row_mask:0xf bank_mask:0xf// 00000000D528: 0A4242FA FF015D8E
	v_mul_f32_dpp v34, v142, v34 row_newbcast:14 row_mask:0xf bank_mask:0xf// 00000000D530: 0A4444FA FF015E8E
	v_mul_f32_dpp v35, v142, v35 row_newbcast:15 row_mask:0xf bank_mask:0xf// 00000000D538: 0A4646FA FF015F8E
	v_mul_f32_dpp v36, v142, v36 row_newbcast:0 row_mask:0xf bank_mask:0xf// 00000000D540: 0A4848FA FF01508E
	v_mul_f32_dpp v37, v142, v37 row_newbcast:1 row_mask:0xf bank_mask:0xf// 00000000D548: 0A4A4AFA FF01518E
	v_mul_f32_dpp v38, v142, v38 row_newbcast:2 row_mask:0xf bank_mask:0xf// 00000000D550: 0A4C4CFA FF01528E
	v_mul_f32_dpp v39, v142, v39 row_newbcast:3 row_mask:0xf bank_mask:0xf// 00000000D558: 0A4E4EFA FF01538E
	v_mul_f32_dpp v40, v142, v40 row_newbcast:4 row_mask:0xf bank_mask:0xf// 00000000D560: 0A5050FA FF01548E
	v_mul_f32_dpp v41, v142, v41 row_newbcast:5 row_mask:0xf bank_mask:0xf// 00000000D568: 0A5252FA FF01558E
	v_mul_f32_dpp v42, v142, v42 row_newbcast:6 row_mask:0xf bank_mask:0xf// 00000000D570: 0A5454FA FF01568E
	v_mul_f32_dpp v43, v142, v43 row_newbcast:7 row_mask:0xf bank_mask:0xf// 00000000D578: 0A5656FA FF01578E
	v_mul_f32_dpp v44, v142, v44 row_newbcast:8 row_mask:0xf bank_mask:0xf// 00000000D580: 0A5858FA FF01588E
	v_mul_f32_dpp v45, v142, v45 row_newbcast:9 row_mask:0xf bank_mask:0xf// 00000000D588: 0A5A5AFA FF01598E
	v_mul_f32_dpp v46, v142, v46 row_newbcast:10 row_mask:0xf bank_mask:0xf// 00000000D590: 0A5C5CFA FF015A8E
	v_mul_f32_dpp v47, v142, v47 row_newbcast:11 row_mask:0xf bank_mask:0xf// 00000000D598: 0A5E5EFA FF015B8E
	v_mul_f32_dpp v48, v142, v48 row_newbcast:12 row_mask:0xf bank_mask:0xf// 00000000D5A0: 0A6060FA FF015C8E
	v_mul_f32_dpp v49, v142, v49 row_newbcast:13 row_mask:0xf bank_mask:0xf// 00000000D5A8: 0A6262FA FF015D8E
	v_mul_f32_dpp v50, v142, v50 row_newbcast:14 row_mask:0xf bank_mask:0xf// 00000000D5B0: 0A6464FA FF015E8E
	v_mul_f32_dpp v51, v142, v51 row_newbcast:15 row_mask:0xf bank_mask:0xf// 00000000D5B8: 0A6666FA FF015F8E
	v_mul_f32_dpp v52, v142, v52 row_newbcast:0 row_mask:0xf bank_mask:0xf// 00000000D5C0: 0A6868FA FF01508E
	v_mul_f32_dpp v53, v142, v53 row_newbcast:1 row_mask:0xf bank_mask:0xf// 00000000D5C8: 0A6A6AFA FF01518E
	v_mul_f32_dpp v54, v142, v54 row_newbcast:2 row_mask:0xf bank_mask:0xf// 00000000D5D0: 0A6C6CFA FF01528E
	v_mul_f32_dpp v55, v142, v55 row_newbcast:3 row_mask:0xf bank_mask:0xf// 00000000D5D8: 0A6E6EFA FF01538E
	v_mul_f32_dpp v56, v142, v56 row_newbcast:4 row_mask:0xf bank_mask:0xf// 00000000D5E0: 0A7070FA FF01548E
	v_mul_f32_dpp v57, v142, v57 row_newbcast:5 row_mask:0xf bank_mask:0xf// 00000000D5E8: 0A7272FA FF01558E
	v_mul_f32_dpp v58, v142, v58 row_newbcast:6 row_mask:0xf bank_mask:0xf// 00000000D5F0: 0A7474FA FF01568E
	v_mul_f32_dpp v59, v142, v59 row_newbcast:7 row_mask:0xf bank_mask:0xf// 00000000D5F8: 0A7676FA FF01578E
	v_mul_f32_dpp v60, v142, v60 row_newbcast:8 row_mask:0xf bank_mask:0xf// 00000000D600: 0A7878FA FF01588E
	v_mul_f32_dpp v61, v142, v61 row_newbcast:9 row_mask:0xf bank_mask:0xf// 00000000D608: 0A7A7AFA FF01598E
	v_mul_f32_dpp v62, v142, v62 row_newbcast:10 row_mask:0xf bank_mask:0xf// 00000000D610: 0A7C7CFA FF015A8E
	v_mul_f32_dpp v63, v142, v63 row_newbcast:11 row_mask:0xf bank_mask:0xf// 00000000D618: 0A7E7EFA FF015B8E
	v_mul_f32_dpp v64, v142, v64 row_newbcast:12 row_mask:0xf bank_mask:0xf// 00000000D620: 0A8080FA FF015C8E
	v_mul_f32_dpp v65, v142, v65 row_newbcast:13 row_mask:0xf bank_mask:0xf// 00000000D628: 0A8282FA FF015D8E
	v_mul_f32_dpp v66, v142, v66 row_newbcast:14 row_mask:0xf bank_mask:0xf// 00000000D630: 0A8484FA FF015E8E
	v_mul_f32_dpp v67, v142, v67 row_newbcast:15 row_mask:0xf bank_mask:0xf// 00000000D638: 0A8686FA FF015F8E
	v_mov_b32_e32 v176, 0x358637bd                             // 00000000D640: 7F6002FF 358637BD
	v_max3_f32 v176, |v4|, |v5|, v176                          // 00000000D648: D1D303B0 06C20B04
	v_max3_f32 v176, |v6|, |v7|, v176                          // 00000000D650: D1D303B0 06C20F06
	v_max3_f32 v176, |v8|, |v9|, v176                          // 00000000D658: D1D303B0 06C21308
	v_max3_f32 v176, |v10|, |v11|, v176                        // 00000000D660: D1D303B0 06C2170A
	v_max3_f32 v176, |v12|, |v13|, v176                        // 00000000D668: D1D303B0 06C21B0C
	v_max3_f32 v176, |v14|, |v15|, v176                        // 00000000D670: D1D303B0 06C21F0E
	v_max3_f32 v176, |v16|, |v17|, v176                        // 00000000D678: D1D303B0 06C22310
	v_max3_f32 v176, |v18|, |v19|, v176                        // 00000000D680: D1D303B0 06C22712
	v_mov_b32_e32 v177, 0x358637bd                             // 00000000D688: 7F6202FF 358637BD
	v_max3_f32 v177, |v20|, |v21|, v177                        // 00000000D690: D1D303B1 06C62B14
	v_max3_f32 v177, |v22|, |v23|, v177                        // 00000000D698: D1D303B1 06C62F16
	v_max3_f32 v177, |v24|, |v25|, v177                        // 00000000D6A0: D1D303B1 06C63318
	v_max3_f32 v177, |v26|, |v27|, v177                        // 00000000D6A8: D1D303B1 06C6371A
	v_max3_f32 v177, |v28|, |v29|, v177                        // 00000000D6B0: D1D303B1 06C63B1C
	v_max3_f32 v177, |v30|, |v31|, v177                        // 00000000D6B8: D1D303B1 06C63F1E
	v_max3_f32 v177, |v32|, |v33|, v177                        // 00000000D6C0: D1D303B1 06C64320
	v_max3_f32 v177, |v34|, |v35|, v177                        // 00000000D6C8: D1D303B1 06C64722
	v_mov_b32_e32 v178, 0x358637bd                             // 00000000D6D0: 7F6402FF 358637BD
	v_max3_f32 v178, |v36|, |v37|, v178                        // 00000000D6D8: D1D303B2 06CA4B24
	v_max3_f32 v178, |v38|, |v39|, v178                        // 00000000D6E0: D1D303B2 06CA4F26
	v_max3_f32 v178, |v40|, |v41|, v178                        // 00000000D6E8: D1D303B2 06CA5328
	v_max3_f32 v178, |v42|, |v43|, v178                        // 00000000D6F0: D1D303B2 06CA572A
	v_max3_f32 v178, |v44|, |v45|, v178                        // 00000000D6F8: D1D303B2 06CA5B2C
	v_max3_f32 v178, |v46|, |v47|, v178                        // 00000000D700: D1D303B2 06CA5F2E
	v_max3_f32 v178, |v48|, |v49|, v178                        // 00000000D708: D1D303B2 06CA6330
	v_max3_f32 v178, |v50|, |v51|, v178                        // 00000000D710: D1D303B2 06CA6732
	v_mov_b32_e32 v179, 0x358637bd                             // 00000000D718: 7F6602FF 358637BD
	v_max3_f32 v179, |v52|, |v53|, v179                        // 00000000D720: D1D303B3 06CE6B34
	v_max3_f32 v179, |v54|, |v55|, v179                        // 00000000D728: D1D303B3 06CE6F36
	v_max3_f32 v179, |v56|, |v57|, v179                        // 00000000D730: D1D303B3 06CE7338
	v_max3_f32 v179, |v58|, |v59|, v179                        // 00000000D738: D1D303B3 06CE773A
	v_max3_f32 v179, |v60|, |v61|, v179                        // 00000000D740: D1D303B3 06CE7B3C
	v_max3_f32 v179, |v62|, |v63|, v179                        // 00000000D748: D1D303B3 06CE7F3E
	v_max3_f32 v179, |v64|, |v65|, v179                        // 00000000D750: D1D303B3 06CE8340
	v_max3_f32 v179, |v66|, |v67|, v179                        // 00000000D758: D1D303B3 06CE8742
	ds_bpermute_b32 v180, v200, v176                           // 00000000D760: D87E0000 B400B0C8
	ds_bpermute_b32 v181, v201, v176                           // 00000000D768: D87E0000 B500B0C9
	ds_bpermute_b32 v182, v202, v176                           // 00000000D770: D87E0000 B600B0CA
	ds_bpermute_b32 v183, v200, v177                           // 00000000D778: D87E0000 B700B1C8
	ds_bpermute_b32 v184, v201, v177                           // 00000000D780: D87E0000 B800B1C9
	ds_bpermute_b32 v185, v202, v177                           // 00000000D788: D87E0000 B900B1CA
	ds_bpermute_b32 v186, v200, v178                           // 00000000D790: D87E0000 BA00B2C8
	ds_bpermute_b32 v187, v201, v178                           // 00000000D798: D87E0000 BB00B2C9
	ds_bpermute_b32 v188, v202, v178                           // 00000000D7A0: D87E0000 BC00B2CA
	ds_bpermute_b32 v189, v200, v179                           // 00000000D7A8: D87E0000 BD00B3C8
	ds_bpermute_b32 v190, v201, v179                           // 00000000D7B0: D87E0000 BE00B3C9
	ds_bpermute_b32 v191, v202, v179                           // 00000000D7B8: D87E0000 BF00B3CA
	s_waitcnt lgkmcnt(9)                                       // 00000000D7C0: BF8CC97F
	v_max3_f32 v176, v180, v181, v176                          // 00000000D7C4: D1D300B0 06C36BB4
	v_max_f32_e32 v176, v182, v176                             // 00000000D7CC: 176161B6
	s_waitcnt lgkmcnt(6)                                       // 00000000D7D0: BF8CC67F
	v_max3_f32 v177, v183, v184, v177                          // 00000000D7D4: D1D300B1 06C771B7
	v_max_f32_e32 v177, v185, v177                             // 00000000D7DC: 176363B9
	s_waitcnt lgkmcnt(3)                                       // 00000000D7E0: BF8CC37F
	v_max3_f32 v178, v186, v187, v178                          // 00000000D7E4: D1D300B2 06CB77BA
	v_max_f32_e32 v178, v188, v178                             // 00000000D7EC: 176565BC
	s_waitcnt lgkmcnt(0)                                       // 00000000D7F0: BF8CC07F
	v_max3_f32 v179, v189, v190, v179                          // 00000000D7F4: D1D300B3 06CF7DBD
	v_max_f32_e32 v179, v191, v179                             // 00000000D7FC: 176767BF
	ds_write_b128 v247, v[176:179] offset:4096                 // 00000000D800: D9BE1000 0000B0F7
	buffer_load_dword v141, v231, s[20:23], 0 offen            // 00000000D808: E0501000 80058DE7
	s_waitcnt lgkmcnt(0)                                       // 00000000D810: BF8CC07F
	s_barrier                                                  // 00000000D814: BF8A0000
	buffer_load_dword v143, v232, s[24:27], 0 offen            // 00000000D818: E0501000 80068FE8
	ds_read_b128 v[180:183], v248 offset:4096                  // 00000000D820: D9FE1000 B40000F8
	ds_read_b128 v[184:187], v248 offset:4352                  // 00000000D828: D9FE1100 B80000F8
	ds_read_b128 v[188:191], v248 offset:4608                  // 00000000D830: D9FE1200 BC0000F8
	ds_read_b128 v[192:195], v248 offset:4864                  // 00000000D838: D9FE1300 C00000F8
	s_waitcnt lgkmcnt(0)                                       // 00000000D840: BF8CC07F
	v_max3_f32 v176, v180, v184, v176                          // 00000000D844: D1D300B0 06C371B4
	v_max3_f32 v177, v181, v185, v177                          // 00000000D84C: D1D300B1 06C773B5
	v_max3_f32 v178, v182, v186, v178                          // 00000000D854: D1D300B2 06CB75B6
	v_max3_f32 v179, v183, v187, v179                          // 00000000D85C: D1D300B3 06CF77B7
	v_max3_f32 v176, v188, v192, v176                          // 00000000D864: D1D300B0 06C381BC
	v_max3_f32 v177, v189, v193, v177                          // 00000000D86C: D1D300B1 06C783BD
	v_max3_f32 v178, v190, v194, v178                          // 00000000D874: D1D300B2 06CB85BE
	v_max3_f32 v179, v191, v195, v179                          // 00000000D87C: D1D300B3 06CF87BF
	v_rcp_f32_e32 v176, v176                                   // 00000000D884: 7F6045B0
	v_rcp_f32_e32 v177, v177                                   // 00000000D888: 7F6245B1
	v_rcp_f32_e32 v178, v178                                   // 00000000D88C: 7F6445B2
	v_rcp_f32_e32 v179, v179                                   // 00000000D890: 7F6645B3
	v_mul_f32_e32 v176, 0x43700000, v176                       // 00000000D894: 0B6160FF 43700000
	v_mul_f32_e32 v177, 0x43700000, v177                       // 00000000D89C: 0B6362FF 43700000
	v_mul_f32_e32 v178, 0x43700000, v178                       // 00000000D8A4: 0B6564FF 43700000
	v_mul_f32_e32 v179, 0x43700000, v179                       // 00000000D8AC: 0B6766FF 43700000
	v_mul_f32_e32 v4, v176, v4                                 // 00000000D8B4: 0A0809B0
	v_mul_f32_e32 v5, v176, v5                                 // 00000000D8B8: 0A0A0BB0
	v_mul_f32_e32 v6, v176, v6                                 // 00000000D8BC: 0A0C0DB0
	v_mul_f32_e32 v7, v176, v7                                 // 00000000D8C0: 0A0E0FB0
	v_mul_f32_e32 v8, v176, v8                                 // 00000000D8C4: 0A1011B0
	v_mul_f32_e32 v9, v176, v9                                 // 00000000D8C8: 0A1213B0
	v_mul_f32_e32 v10, v176, v10                               // 00000000D8CC: 0A1415B0
	v_mul_f32_e32 v11, v176, v11                               // 00000000D8D0: 0A1617B0
	v_mul_f32_e32 v12, v176, v12                               // 00000000D8D4: 0A1819B0
	v_mul_f32_e32 v13, v176, v13                               // 00000000D8D8: 0A1A1BB0
	v_mul_f32_e32 v14, v176, v14                               // 00000000D8DC: 0A1C1DB0
	v_mul_f32_e32 v15, v176, v15                               // 00000000D8E0: 0A1E1FB0
	v_mul_f32_e32 v16, v176, v16                               // 00000000D8E4: 0A2021B0
	v_mul_f32_e32 v17, v176, v17                               // 00000000D8E8: 0A2223B0
	v_mul_f32_e32 v18, v176, v18                               // 00000000D8EC: 0A2425B0
	v_mul_f32_e32 v19, v176, v19                               // 00000000D8F0: 0A2627B0
	v_mul_f32_e32 v20, v177, v20                               // 00000000D8F4: 0A2829B1
	v_mul_f32_e32 v21, v177, v21                               // 00000000D8F8: 0A2A2BB1
	v_mul_f32_e32 v22, v177, v22                               // 00000000D8FC: 0A2C2DB1
	v_mul_f32_e32 v23, v177, v23                               // 00000000D900: 0A2E2FB1
	v_mul_f32_e32 v24, v177, v24                               // 00000000D904: 0A3031B1
	v_mul_f32_e32 v25, v177, v25                               // 00000000D908: 0A3233B1
	v_mul_f32_e32 v26, v177, v26                               // 00000000D90C: 0A3435B1
	v_mul_f32_e32 v27, v177, v27                               // 00000000D910: 0A3637B1
	v_mul_f32_e32 v28, v177, v28                               // 00000000D914: 0A3839B1
	v_mul_f32_e32 v29, v177, v29                               // 00000000D918: 0A3A3BB1
	v_mul_f32_e32 v30, v177, v30                               // 00000000D91C: 0A3C3DB1
	v_mul_f32_e32 v31, v177, v31                               // 00000000D920: 0A3E3FB1
	v_mul_f32_e32 v32, v177, v32                               // 00000000D924: 0A4041B1
	v_mul_f32_e32 v33, v177, v33                               // 00000000D928: 0A4243B1
	v_mul_f32_e32 v34, v177, v34                               // 00000000D92C: 0A4445B1
	v_mul_f32_e32 v35, v177, v35                               // 00000000D930: 0A4647B1
	v_mul_f32_e32 v36, v178, v36                               // 00000000D934: 0A4849B2
	v_mul_f32_e32 v37, v178, v37                               // 00000000D938: 0A4A4BB2
	v_mul_f32_e32 v38, v178, v38                               // 00000000D93C: 0A4C4DB2
	v_mul_f32_e32 v39, v178, v39                               // 00000000D940: 0A4E4FB2
	v_mul_f32_e32 v40, v178, v40                               // 00000000D944: 0A5051B2
	v_mul_f32_e32 v41, v178, v41                               // 00000000D948: 0A5253B2
	v_mul_f32_e32 v42, v178, v42                               // 00000000D94C: 0A5455B2
	v_mul_f32_e32 v43, v178, v43                               // 00000000D950: 0A5657B2
	v_mul_f32_e32 v44, v178, v44                               // 00000000D954: 0A5859B2
	v_mul_f32_e32 v45, v178, v45                               // 00000000D958: 0A5A5BB2
	v_mul_f32_e32 v46, v178, v46                               // 00000000D95C: 0A5C5DB2
	v_mul_f32_e32 v47, v178, v47                               // 00000000D960: 0A5E5FB2
	v_mul_f32_e32 v48, v178, v48                               // 00000000D964: 0A6061B2
	v_mul_f32_e32 v49, v178, v49                               // 00000000D968: 0A6263B2
	v_mul_f32_e32 v50, v178, v50                               // 00000000D96C: 0A6465B2
	v_mul_f32_e32 v51, v178, v51                               // 00000000D970: 0A6667B2
	v_mul_f32_e32 v52, v179, v52                               // 00000000D974: 0A6869B3
	v_mul_f32_e32 v53, v179, v53                               // 00000000D978: 0A6A6BB3
	v_mul_f32_e32 v54, v179, v54                               // 00000000D97C: 0A6C6DB3
	v_mul_f32_e32 v55, v179, v55                               // 00000000D980: 0A6E6FB3
	v_mul_f32_e32 v56, v179, v56                               // 00000000D984: 0A7071B3
	v_mul_f32_e32 v57, v179, v57                               // 00000000D988: 0A7273B3
	v_mul_f32_e32 v58, v179, v58                               // 00000000D98C: 0A7475B3
	v_mul_f32_e32 v59, v179, v59                               // 00000000D990: 0A7677B3
	v_mul_f32_e32 v60, v179, v60                               // 00000000D994: 0A7879B3
	v_mul_f32_e32 v61, v179, v61                               // 00000000D998: 0A7A7BB3
	v_mul_f32_e32 v62, v179, v62                               // 00000000D99C: 0A7C7DB3
	v_mul_f32_e32 v63, v179, v63                               // 00000000D9A0: 0A7E7FB3
	v_mul_f32_e32 v64, v179, v64                               // 00000000D9A4: 0A8081B3
	v_mul_f32_e32 v65, v179, v65                               // 00000000D9A8: 0A8283B3
	v_mul_f32_e32 v66, v179, v66                               // 00000000D9AC: 0A8485B3
	v_mul_f32_e32 v67, v179, v67                               // 00000000D9B0: 0A8687B3
	v_cvt_pk_fp8_f32 v4, v4, v5                                // 00000000D9B4: D2A20004 00020B04
	v_cvt_pk_fp8_f32 v4, v6, v7 op_sel:[0,0,1]                 // 00000000D9BC: D2A24004 00020F06
	v_cvt_pk_fp8_f32 v5, v8, v9                                // 00000000D9C4: D2A20005 00021308
	v_cvt_pk_fp8_f32 v5, v10, v11 op_sel:[0,0,1]               // 00000000D9CC: D2A24005 0002170A
	v_cvt_pk_fp8_f32 v6, v12, v13                              // 00000000D9D4: D2A20006 00021B0C
	v_cvt_pk_fp8_f32 v6, v14, v15 op_sel:[0,0,1]               // 00000000D9DC: D2A24006 00021F0E
	v_cvt_pk_fp8_f32 v7, v16, v17                              // 00000000D9E4: D2A20007 00022310
	v_cvt_pk_fp8_f32 v7, v18, v19 op_sel:[0,0,1]               // 00000000D9EC: D2A24007 00022712
	v_cvt_pk_fp8_f32 v8, v20, v21                              // 00000000D9F4: D2A20008 00022B14
	v_cvt_pk_fp8_f32 v8, v22, v23 op_sel:[0,0,1]               // 00000000D9FC: D2A24008 00022F16
	v_cvt_pk_fp8_f32 v9, v24, v25                              // 00000000DA04: D2A20009 00023318
	v_cvt_pk_fp8_f32 v9, v26, v27 op_sel:[0,0,1]               // 00000000DA0C: D2A24009 0002371A
	v_cvt_pk_fp8_f32 v10, v28, v29                             // 00000000DA14: D2A2000A 00023B1C
	v_cvt_pk_fp8_f32 v10, v30, v31 op_sel:[0,0,1]              // 00000000DA1C: D2A2400A 00023F1E
	v_cvt_pk_fp8_f32 v11, v32, v33                             // 00000000DA24: D2A2000B 00024320
	v_cvt_pk_fp8_f32 v11, v34, v35 op_sel:[0,0,1]              // 00000000DA2C: D2A2400B 00024722
	v_cvt_pk_fp8_f32 v12, v36, v37                             // 00000000DA34: D2A2000C 00024B24
	v_cvt_pk_fp8_f32 v12, v38, v39 op_sel:[0,0,1]              // 00000000DA3C: D2A2400C 00024F26
	v_cvt_pk_fp8_f32 v13, v40, v41                             // 00000000DA44: D2A2000D 00025328
	v_cvt_pk_fp8_f32 v13, v42, v43 op_sel:[0,0,1]              // 00000000DA4C: D2A2400D 0002572A
	v_cvt_pk_fp8_f32 v14, v44, v45                             // 00000000DA54: D2A2000E 00025B2C
	v_cvt_pk_fp8_f32 v14, v46, v47 op_sel:[0,0,1]              // 00000000DA5C: D2A2400E 00025F2E
	v_cvt_pk_fp8_f32 v15, v48, v49                             // 00000000DA64: D2A2000F 00026330
	v_cvt_pk_fp8_f32 v15, v50, v51 op_sel:[0,0,1]              // 00000000DA6C: D2A2400F 00026732
	v_cvt_pk_fp8_f32 v16, v52, v53                             // 00000000DA74: D2A20010 00026B34
	v_cvt_pk_fp8_f32 v16, v54, v55 op_sel:[0,0,1]              // 00000000DA7C: D2A24010 00026F36
	v_cvt_pk_fp8_f32 v17, v56, v57                             // 00000000DA84: D2A20011 00027338
	v_cvt_pk_fp8_f32 v17, v58, v59 op_sel:[0,0,1]              // 00000000DA8C: D2A24011 0002773A
	v_cvt_pk_fp8_f32 v18, v60, v61                             // 00000000DA94: D2A20012 00027B3C
	v_cvt_pk_fp8_f32 v18, v62, v63 op_sel:[0,0,1]              // 00000000DA9C: D2A24012 00027F3E
	v_cvt_pk_fp8_f32 v19, v64, v65                             // 00000000DAA4: D2A20013 00028340
	v_cvt_pk_fp8_f32 v19, v66, v67 op_sel:[0,0,1]              // 00000000DAAC: D2A24013 00028742
	ds_write_b32 v249, v4 offset:8192                          // 00000000DAB4: D81A2000 000004F9
	ds_write_b32 v249, v5 offset:9216                          // 00000000DABC: D81A2400 000005F9
	ds_write_b32 v249, v6 offset:10240                         // 00000000DAC4: D81A2800 000006F9
	ds_write_b32 v249, v7 offset:11264                         // 00000000DACC: D81A2C00 000007F9
	ds_write_b32 v249, v8 offset:12288                         // 00000000DAD4: D81A3000 000008F9
	ds_write_b32 v249, v9 offset:13312                         // 00000000DADC: D81A3400 000009F9
	ds_write_b32 v249, v10 offset:14336                        // 00000000DAE4: D81A3800 00000AF9
	ds_write_b32 v249, v11 offset:15360                        // 00000000DAEC: D81A3C00 00000BF9
	ds_write_b32 v249, v12 offset:16384                        // 00000000DAF4: D81A4000 00000CF9
	ds_write_b32 v249, v13 offset:17408                        // 00000000DAFC: D81A4400 00000DF9
	ds_write_b32 v249, v14 offset:18432                        // 00000000DB04: D81A4800 00000EF9
	ds_write_b32 v249, v15 offset:19456                        // 00000000DB0C: D81A4C00 00000FF9
	ds_write_b32 v249, v16 offset:20480                        // 00000000DB14: D81A5000 000010F9
	ds_write_b32 v249, v17 offset:21504                        // 00000000DB1C: D81A5400 000011F9
	ds_write_b32 v249, v18 offset:22528                        // 00000000DB24: D81A5800 000012F9
	ds_write_b32 v249, v19 offset:23552                        // 00000000DB2C: D81A5C00 000013F9
	v_rcp_f32_e32 v144, v176                                   // 00000000DB34: 7F2045B0
	v_rcp_f32_e32 v146, v177                                   // 00000000DB38: 7F2445B1
	v_rcp_f32_e32 v148, v178                                   // 00000000DB3C: 7F2845B2
	v_rcp_f32_e32 v150, v179                                   // 00000000DB40: 7F2C45B3
	v_mov_b32_e32 v145, v144                                   // 00000000DB44: 7F220390
	v_mov_b32_e32 v147, v146                                   // 00000000DB48: 7F260392
	v_mov_b32_e32 v149, v148                                   // 00000000DB4C: 7F2A0394
	v_mov_b32_e32 v151, v150                                   // 00000000DB50: 7F2E0396
	v_pk_add_f32 v[100:101], v[100:101], v[68:69]              // 00000000DB54: D3B24064 18028964
	v_pk_add_f32 v[102:103], v[102:103], v[70:71]              // 00000000DB5C: D3B24066 18028D66
	v_pk_add_f32 v[104:105], v[104:105], v[72:73]              // 00000000DB64: D3B24068 18029168
	v_pk_add_f32 v[106:107], v[106:107], v[74:75]              // 00000000DB6C: D3B2406A 1802956A
	v_pk_add_f32 v[108:109], v[108:109], v[76:77]              // 00000000DB74: D3B2406C 1802996C
	v_pk_add_f32 v[110:111], v[110:111], v[78:79]              // 00000000DB7C: D3B2406E 18029D6E
	v_pk_add_f32 v[112:113], v[112:113], v[80:81]              // 00000000DB84: D3B24070 1802A170
	v_pk_add_f32 v[114:115], v[114:115], v[82:83]              // 00000000DB8C: D3B24072 1802A572
	v_pk_add_f32 v[116:117], v[116:117], v[84:85]              // 00000000DB94: D3B24074 1802A974
	v_pk_add_f32 v[118:119], v[118:119], v[86:87]              // 00000000DB9C: D3B24076 1802AD76
	v_pk_add_f32 v[120:121], v[120:121], v[88:89]              // 00000000DBA4: D3B24078 1802B178
	v_pk_add_f32 v[122:123], v[122:123], v[90:91]              // 00000000DBAC: D3B2407A 1802B57A
	v_pk_add_f32 v[124:125], v[124:125], v[92:93]              // 00000000DBB4: D3B2407C 1802B97C
	v_pk_add_f32 v[126:127], v[126:127], v[94:95]              // 00000000DBBC: D3B2407E 1802BD7E
	v_pk_add_f32 v[128:129], v[128:129], v[96:97]              // 00000000DBC4: D3B24080 1802C180
	v_pk_add_f32 v[130:131], v[130:131], v[98:99]              // 00000000DBCC: D3B24082 1802C582
	s_waitcnt lgkmcnt(0)                                       // 00000000DBD4: BF8CC07F
	s_barrier                                                  // 00000000DBD8: BF8A0000
	ds_read_b128 v[4:7], v250 offset:8192                      // 00000000DBDC: D9FE2000 040000FA
	ds_read_b128 v[8:11], v250 offset:9216                     // 00000000DBE4: D9FE2400 080000FA
	ds_read_b128 v[12:15], v250 offset:10240                   // 00000000DBEC: D9FE2800 0C0000FA
	ds_read_b128 v[16:19], v250 offset:11264                   // 00000000DBF4: D9FE2C00 100000FA
	ds_read_b128 v[20:23], v250 offset:12288                   // 00000000DBFC: D9FE3000 140000FA
	ds_read_b128 v[24:27], v250 offset:13312                   // 00000000DC04: D9FE3400 180000FA
	ds_read_b128 v[28:31], v250 offset:14336                   // 00000000DC0C: D9FE3800 1C0000FA
	ds_read_b128 v[32:35], v250 offset:15360                   // 00000000DC14: D9FE3C00 200000FA
	ds_read_b128 v[36:39], v250 offset:16384                   // 00000000DC1C: D9FE4000 240000FA
	ds_read_b128 v[40:43], v250 offset:17408                   // 00000000DC24: D9FE4400 280000FA
	ds_read_b128 v[44:47], v250 offset:18432                   // 00000000DC2C: D9FE4800 2C0000FA
	ds_read_b128 v[48:51], v250 offset:19456                   // 00000000DC34: D9FE4C00 300000FA
	ds_read_b128 v[52:55], v250 offset:20480                   // 00000000DC3C: D9FE5000 340000FA
	ds_read_b128 v[56:59], v250 offset:21504                   // 00000000DC44: D9FE5400 380000FA
	ds_read_b128 v[60:63], v250 offset:22528                   // 00000000DC4C: D9FE5800 3C0000FA
	ds_read_b128 v[64:67], v250 offset:23552                   // 00000000DC54: D9FE5C00 400000FA
	s_waitcnt vmcnt(10)                                        // 00000000DC5C: BF8C0F7A
	s_waitcnt vmcnt(63) expcnt(7) lgkmcnt(15)                  // 00000000DC60: BF8CCF7F
	v_mfma_f32_16x16x32_fp8_fp8 v[68:71], a[96:97], v[4:5], 0  // 00000000DC64: D3F30044 0A020960
	v_mfma_f32_16x16x32_fp8_fp8 v[72:75], a[112:113], v[4:5], 0// 00000000DC6C: D3F30048 0A020970
	v_mfma_f32_16x16x32_fp8_fp8 v[68:71], a[98:99], v[6:7], v[68:71]// 00000000DC74: D3F30044 0D120D62
	buffer_load_dwordx4 a[128:131], v227, s[16:19], 0 offen    // 00000000DC7C: E05C1000 808480E3
	v_mfma_f32_16x16x32_fp8_fp8 v[72:75], a[114:115], v[6:7], v[72:75]// 00000000DC84: D3F30048 0D220D72
	s_waitcnt lgkmcnt(14)                                      // 00000000DC8C: BF8CCE7F
	v_mfma_f32_16x16x32_fp8_fp8 v[68:71], a[100:101], v[8:9], v[68:71]// 00000000DC90: D3F30044 0D121164
	v_mfma_f32_16x16x32_fp8_fp8 v[72:75], a[116:117], v[8:9], v[72:75]// 00000000DC98: D3F30048 0D221174
	v_mfma_f32_16x16x32_fp8_fp8 v[68:71], a[102:103], v[10:11], v[68:71]// 00000000DCA0: D3F30044 0D121566
	buffer_load_dwordx4 a[132:135], v228, s[16:19], 0 offen    // 00000000DCA8: E05C1000 808484E4
	v_mfma_f32_16x16x32_fp8_fp8 v[72:75], a[118:119], v[10:11], v[72:75]// 00000000DCB0: D3F30048 0D221576
	s_waitcnt lgkmcnt(13)                                      // 00000000DCB8: BF8CCD7F
	v_mfma_f32_16x16x32_fp8_fp8 v[68:71], a[104:105], v[12:13], v[68:71]// 00000000DCBC: D3F30044 0D121968
	v_mfma_f32_16x16x32_fp8_fp8 v[72:75], a[120:121], v[12:13], v[72:75]// 00000000DCC4: D3F30048 0D221978
	v_mfma_f32_16x16x32_fp8_fp8 v[68:71], a[106:107], v[14:15], v[68:71]// 00000000DCCC: D3F30044 0D121D6A
	buffer_load_dwordx4 a[136:139], v229, s[16:19], 0 offen    // 00000000DCD4: E05C1000 808488E5
	v_mfma_f32_16x16x32_fp8_fp8 v[72:75], a[122:123], v[14:15], v[72:75]// 00000000DCDC: D3F30048 0D221D7A
	s_waitcnt lgkmcnt(12)                                      // 00000000DCE4: BF8CCC7F
	v_mfma_f32_16x16x32_fp8_fp8 v[68:71], a[108:109], v[16:17], v[68:71]// 00000000DCE8: D3F30044 0D12216C
	v_mfma_f32_16x16x32_fp8_fp8 v[72:75], a[124:125], v[16:17], v[72:75]// 00000000DCF0: D3F30048 0D22217C
	v_mfma_f32_16x16x32_fp8_fp8 v[68:71], a[110:111], v[18:19], v[68:71]// 00000000DCF8: D3F30044 0D12256E
	buffer_load_dwordx4 a[140:143], v230, s[16:19], 0 offen    // 00000000DD00: E05C1000 80848CE6
	v_mfma_f32_16x16x32_fp8_fp8 v[72:75], a[126:127], v[18:19], v[72:75]// 00000000DD08: D3F30048 0D22257E
	s_waitcnt lgkmcnt(11)                                      // 00000000DD10: BF8CCB7F
	v_mfma_f32_16x16x32_fp8_fp8 v[76:79], a[96:97], v[20:21], 0// 00000000DD14: D3F3004C 0A022960
	v_mfma_f32_16x16x32_fp8_fp8 v[80:83], a[112:113], v[20:21], 0// 00000000DD1C: D3F30050 0A022970
	v_mfma_f32_16x16x32_fp8_fp8 v[76:79], a[98:99], v[22:23], v[76:79]// 00000000DD24: D3F3004C 0D322D62
	buffer_load_dwordx4 a[144:147], v227, s[16:19], 0 offen offset:1024// 00000000DD2C: E05C1400 808490E3
	v_mfma_f32_16x16x32_fp8_fp8 v[80:83], a[114:115], v[22:23], v[80:83]// 00000000DD34: D3F30050 0D422D72
	s_waitcnt lgkmcnt(10)                                      // 00000000DD3C: BF8CCA7F
	v_mfma_f32_16x16x32_fp8_fp8 v[76:79], a[100:101], v[24:25], v[76:79]// 00000000DD40: D3F3004C 0D323164
	v_mfma_f32_16x16x32_fp8_fp8 v[80:83], a[116:117], v[24:25], v[80:83]// 00000000DD48: D3F30050 0D423174
	v_mfma_f32_16x16x32_fp8_fp8 v[76:79], a[102:103], v[26:27], v[76:79]// 00000000DD50: D3F3004C 0D323566
	buffer_load_dwordx4 a[148:151], v228, s[16:19], 0 offen offset:1024// 00000000DD58: E05C1400 808494E4
	v_mfma_f32_16x16x32_fp8_fp8 v[80:83], a[118:119], v[26:27], v[80:83]// 00000000DD60: D3F30050 0D423576
	s_waitcnt lgkmcnt(9)                                       // 00000000DD68: BF8CC97F
	v_mfma_f32_16x16x32_fp8_fp8 v[76:79], a[104:105], v[28:29], v[76:79]// 00000000DD6C: D3F3004C 0D323968
	v_mfma_f32_16x16x32_fp8_fp8 v[80:83], a[120:121], v[28:29], v[80:83]// 00000000DD74: D3F30050 0D423978
	v_mfma_f32_16x16x32_fp8_fp8 v[76:79], a[106:107], v[30:31], v[76:79]// 00000000DD7C: D3F3004C 0D323D6A
	buffer_load_dwordx4 a[152:155], v229, s[16:19], 0 offen offset:1024// 00000000DD84: E05C1400 808498E5
	v_mfma_f32_16x16x32_fp8_fp8 v[80:83], a[122:123], v[30:31], v[80:83]// 00000000DD8C: D3F30050 0D423D7A
	s_waitcnt lgkmcnt(8)                                       // 00000000DD94: BF8CC87F
	v_mfma_f32_16x16x32_fp8_fp8 v[76:79], a[108:109], v[32:33], v[76:79]// 00000000DD98: D3F3004C 0D32416C
	v_mfma_f32_16x16x32_fp8_fp8 v[80:83], a[124:125], v[32:33], v[80:83]// 00000000DDA0: D3F30050 0D42417C
	v_mfma_f32_16x16x32_fp8_fp8 v[76:79], a[110:111], v[34:35], v[76:79]// 00000000DDA8: D3F3004C 0D32456E
	buffer_load_dwordx4 a[156:159], v230, s[16:19], 0 offen offset:1024// 00000000DDB0: E05C1400 80849CE6
	v_mfma_f32_16x16x32_fp8_fp8 v[80:83], a[126:127], v[34:35], v[80:83]// 00000000DDB8: D3F30050 0D42457E
	s_waitcnt lgkmcnt(7)                                       // 00000000DDC0: BF8CC77F
	v_mfma_f32_16x16x32_fp8_fp8 v[84:87], a[96:97], v[36:37], 0// 00000000DDC4: D3F30054 0A024960
	v_mfma_f32_16x16x32_fp8_fp8 v[88:91], a[112:113], v[36:37], 0// 00000000DDCC: D3F30058 0A024970
	v_mfma_f32_16x16x32_fp8_fp8 v[84:87], a[98:99], v[38:39], v[84:87]// 00000000DDD4: D3F30054 0D524D62
	v_mfma_f32_16x16x32_fp8_fp8 v[88:91], a[114:115], v[38:39], v[88:91]// 00000000DDDC: D3F30058 0D624D72
	s_waitcnt lgkmcnt(6)                                       // 00000000DDE4: BF8CC67F
	v_mfma_f32_16x16x32_fp8_fp8 v[84:87], a[100:101], v[40:41], v[84:87]// 00000000DDE8: D3F30054 0D525164
	v_mfma_f32_16x16x32_fp8_fp8 v[88:91], a[116:117], v[40:41], v[88:91]// 00000000DDF0: D3F30058 0D625174
	v_mfma_f32_16x16x32_fp8_fp8 v[84:87], a[102:103], v[42:43], v[84:87]// 00000000DDF8: D3F30054 0D525566
	v_mfma_f32_16x16x32_fp8_fp8 v[88:91], a[118:119], v[42:43], v[88:91]// 00000000DE00: D3F30058 0D625576
	s_waitcnt lgkmcnt(5)                                       // 00000000DE08: BF8CC57F
	v_mfma_f32_16x16x32_fp8_fp8 v[84:87], a[104:105], v[44:45], v[84:87]// 00000000DE0C: D3F30054 0D525968
	v_mfma_f32_16x16x32_fp8_fp8 v[88:91], a[120:121], v[44:45], v[88:91]// 00000000DE14: D3F30058 0D625978
	v_mfma_f32_16x16x32_fp8_fp8 v[84:87], a[106:107], v[46:47], v[84:87]// 00000000DE1C: D3F30054 0D525D6A
	v_mfma_f32_16x16x32_fp8_fp8 v[88:91], a[122:123], v[46:47], v[88:91]// 00000000DE24: D3F30058 0D625D7A
	s_waitcnt lgkmcnt(4)                                       // 00000000DE2C: BF8CC47F
	v_mfma_f32_16x16x32_fp8_fp8 v[84:87], a[108:109], v[48:49], v[84:87]// 00000000DE30: D3F30054 0D52616C
	v_mfma_f32_16x16x32_fp8_fp8 v[88:91], a[124:125], v[48:49], v[88:91]// 00000000DE38: D3F30058 0D62617C
	v_mfma_f32_16x16x32_fp8_fp8 v[84:87], a[110:111], v[50:51], v[84:87]// 00000000DE40: D3F30054 0D52656E
	v_mfma_f32_16x16x32_fp8_fp8 v[88:91], a[126:127], v[50:51], v[88:91]// 00000000DE48: D3F30058 0D62657E
	s_waitcnt lgkmcnt(3)                                       // 00000000DE50: BF8CC37F
	v_mfma_f32_16x16x32_fp8_fp8 v[92:95], a[96:97], v[52:53], 0// 00000000DE54: D3F3005C 0A026960
	v_mfma_f32_16x16x32_fp8_fp8 v[96:99], a[112:113], v[52:53], 0// 00000000DE5C: D3F30060 0A026970
	v_mfma_f32_16x16x32_fp8_fp8 v[92:95], a[98:99], v[54:55], v[92:95]// 00000000DE64: D3F3005C 0D726D62
	v_mfma_f32_16x16x32_fp8_fp8 v[96:99], a[114:115], v[54:55], v[96:99]// 00000000DE6C: D3F30060 0D826D72
	s_waitcnt lgkmcnt(2)                                       // 00000000DE74: BF8CC27F
	v_mfma_f32_16x16x32_fp8_fp8 v[92:95], a[100:101], v[56:57], v[92:95]// 00000000DE78: D3F3005C 0D727164
	v_mfma_f32_16x16x32_fp8_fp8 v[96:99], a[116:117], v[56:57], v[96:99]// 00000000DE80: D3F30060 0D827174
	v_mfma_f32_16x16x32_fp8_fp8 v[92:95], a[102:103], v[58:59], v[92:95]// 00000000DE88: D3F3005C 0D727566
	v_mfma_f32_16x16x32_fp8_fp8 v[96:99], a[118:119], v[58:59], v[96:99]// 00000000DE90: D3F30060 0D827576
	s_waitcnt lgkmcnt(1)                                       // 00000000DE98: BF8CC17F
	v_mfma_f32_16x16x32_fp8_fp8 v[92:95], a[104:105], v[60:61], v[92:95]// 00000000DE9C: D3F3005C 0D727968
	v_mfma_f32_16x16x32_fp8_fp8 v[96:99], a[120:121], v[60:61], v[96:99]// 00000000DEA4: D3F30060 0D827978
	v_mfma_f32_16x16x32_fp8_fp8 v[92:95], a[106:107], v[62:63], v[92:95]// 00000000DEAC: D3F3005C 0D727D6A
	v_mfma_f32_16x16x32_fp8_fp8 v[96:99], a[122:123], v[62:63], v[96:99]// 00000000DEB4: D3F30060 0D827D7A
	s_waitcnt lgkmcnt(0)                                       // 00000000DEBC: BF8CC07F
	v_mfma_f32_16x16x32_fp8_fp8 v[92:95], a[108:109], v[64:65], v[92:95]// 00000000DEC0: D3F3005C 0D72816C
	v_mfma_f32_16x16x32_fp8_fp8 v[96:99], a[124:125], v[64:65], v[96:99]// 00000000DEC8: D3F30060 0D82817C
	v_mfma_f32_16x16x32_fp8_fp8 v[92:95], a[110:111], v[66:67], v[92:95]// 00000000DED0: D3F3005C 0D72856E
	v_mfma_f32_16x16x32_fp8_fp8 v[96:99], a[126:127], v[66:67], v[96:99]// 00000000DED8: D3F30060 0D82857E
	s_addk_i32 s64, 0x100                                      // 00000000DEE0: B7400100
	s_cmp_lt_i32 s64, s63                                      // 00000000DEE4: BF043F40
	s_cbranch_scc0 label_500F                                  // 00000000DEE8: BF842254
	s_waitcnt vmcnt(10)                                        // 00000000DEEC: BF8C0F7A
	v_mfma_f32_16x16x32_fp8_fp8 v[4:7], a[64:65], a[0:1], 0    // 00000000DEF0: D3F30004 1A020140
	s_add_u32 s12, s86, s69                                    // 00000000DEF8: 800C4556
	s_addc_u32 s13, s87, 0                                     // 00000000DEFC: 820D8057
	v_mfma_f32_16x16x32_fp8_fp8 v[4:7], a[66:67], a[2:3], v[4:7]// 00000000DF00: D3F30004 1C120542
	s_add_u32 s16, s88, s70                                    // 00000000DF08: 80104658
	s_addc_u32 s17, s89, 0                                     // 00000000DF0C: 82118059
	v_mfma_f32_16x16x32_fp8_fp8 v[4:7], a[68:69], a[4:5], v[4:7]// 00000000DF10: D3F30004 1C120944
	buffer_load_dwordx4 a[32:35], v225, s[12:15], 0 offen      // 00000000DF18: E05C1000 808320E1
	v_mfma_f32_16x16x32_fp8_fp8 v[4:7], a[70:71], a[6:7], v[4:7]// 00000000DF20: D3F30004 1C120D46
	s_add_u32 s20, s90, s71                                    // 00000000DF28: 8014475A
	s_addc_u32 s21, s91, 0                                     // 00000000DF2C: 8215805B
	v_mfma_f32_16x16x32_fp8_fp8 v[8:11], a[72:73], a[0:1], 0   // 00000000DF30: D3F30008 1A020148
	s_add_u32 s24, s92, s71                                    // 00000000DF38: 8018475C
	s_addc_u32 s25, s93, 0                                     // 00000000DF3C: 8219805D
	v_mfma_f32_16x16x32_fp8_fp8 v[8:11], a[74:75], a[2:3], v[8:11]// 00000000DF40: D3F30008 1C22054A
	s_add_u32 s69, s69, 0x1000                                 // 00000000DF48: 8045FF45 00001000
	s_add_u32 s70, s70, 0x8000                                 // 00000000DF50: 8046FF46 00008000
	v_mfma_f32_16x16x32_fp8_fp8 v[8:11], a[76:77], a[4:5], v[8:11]// 00000000DF58: D3F30008 1C22094C
	buffer_load_dwordx4 a[36:39], v226, s[12:15], 0 offen      // 00000000DF60: E05C1000 808324E2
	v_mfma_f32_16x16x32_fp8_fp8 v[8:11], a[78:79], a[6:7], v[8:11]// 00000000DF68: D3F30008 1C220D4E
	s_add_u32 s71, s71, 0x400                                  // 00000000DF70: 8047FF47 00000400
	v_mfma_f32_16x16x32_fp8_fp8 v[12:15], a[80:81], a[0:1], 0  // 00000000DF78: D3F3000C 1A020150
	v_mfma_f32_16x16x32_fp8_fp8 v[12:15], a[82:83], a[2:3], v[12:15]// 00000000DF80: D3F3000C 1C320552
	v_mfma_f32_16x16x32_fp8_fp8 v[12:15], a[84:85], a[4:5], v[12:15]// 00000000DF88: D3F3000C 1C320954
	buffer_load_dwordx4 a[40:43], v225, s[12:15], 0 offen offset:1024// 00000000DF90: E05C1400 808328E1
	v_mfma_f32_16x16x32_fp8_fp8 v[12:15], a[86:87], a[6:7], v[12:15]// 00000000DF98: D3F3000C 1C320D56
	v_mfma_f32_16x16x32_fp8_fp8 v[16:19], a[88:89], a[0:1], 0  // 00000000DFA0: D3F30010 1A020158
	v_mfma_f32_16x16x32_fp8_fp8 v[16:19], a[90:91], a[2:3], v[16:19]// 00000000DFA8: D3F30010 1C42055A
	v_mfma_f32_16x16x32_fp8_fp8 v[16:19], a[92:93], a[4:5], v[16:19]// 00000000DFB0: D3F30010 1C42095C
	buffer_load_dwordx4 a[44:47], v226, s[12:15], 0 offen offset:1024// 00000000DFB8: E05C1400 80832CE2
	v_mfma_f32_16x16x32_fp8_fp8 v[16:19], a[94:95], a[6:7], v[16:19]// 00000000DFC0: D3F30010 1C420D5E
	v_mfma_f32_16x16x32_fp8_fp8 v[20:23], a[64:65], a[8:9], 0  // 00000000DFC8: D3F30014 1A021140
	v_mfma_f32_16x16x32_fp8_fp8 v[20:23], a[66:67], a[10:11], v[20:23]// 00000000DFD0: D3F30014 1C521542
	v_mfma_f32_16x16x32_fp8_fp8 v[20:23], a[68:69], a[12:13], v[20:23]// 00000000DFD8: D3F30014 1C521944
	buffer_load_dwordx4 a[48:51], v225, s[12:15], 0 offen offset:2048// 00000000DFE0: E05C1800 808330E1
	v_mfma_f32_16x16x32_fp8_fp8 v[20:23], a[70:71], a[14:15], v[20:23]// 00000000DFE8: D3F30014 1C521D46
	v_mfma_f32_16x16x32_fp8_fp8 v[24:27], a[72:73], a[8:9], 0  // 00000000DFF0: D3F30018 1A021148
	v_mfma_f32_16x16x32_fp8_fp8 v[24:27], a[74:75], a[10:11], v[24:27]// 00000000DFF8: D3F30018 1C62154A
	v_mfma_f32_16x16x32_fp8_fp8 v[24:27], a[76:77], a[12:13], v[24:27]// 00000000E000: D3F30018 1C62194C
	buffer_load_dwordx4 a[52:55], v226, s[12:15], 0 offen offset:2048// 00000000E008: E05C1800 808334E2
	v_mfma_f32_16x16x32_fp8_fp8 v[24:27], a[78:79], a[14:15], v[24:27]// 00000000E010: D3F30018 1C621D4E
	v_mfma_f32_16x16x32_fp8_fp8 v[28:31], a[80:81], a[8:9], 0  // 00000000E018: D3F3001C 1A021150
	v_mfma_f32_16x16x32_fp8_fp8 v[28:31], a[82:83], a[10:11], v[28:31]// 00000000E020: D3F3001C 1C721552
	v_mfma_f32_16x16x32_fp8_fp8 v[28:31], a[84:85], a[12:13], v[28:31]// 00000000E028: D3F3001C 1C721954
	buffer_load_dwordx4 a[56:59], v225, s[12:15], 0 offen offset:3072// 00000000E030: E05C1C00 808338E1
	v_mfma_f32_16x16x32_fp8_fp8 v[28:31], a[86:87], a[14:15], v[28:31]// 00000000E038: D3F3001C 1C721D56
	v_mfma_f32_16x16x32_fp8_fp8 v[32:35], a[88:89], a[8:9], 0  // 00000000E040: D3F30020 1A021158
	v_mfma_f32_16x16x32_fp8_fp8 v[32:35], a[90:91], a[10:11], v[32:35]// 00000000E048: D3F30020 1C82155A
	v_mfma_f32_16x16x32_fp8_fp8 v[32:35], a[92:93], a[12:13], v[32:35]// 00000000E050: D3F30020 1C82195C
	buffer_load_dwordx4 a[60:63], v226, s[12:15], 0 offen offset:3072// 00000000E058: E05C1C00 80833CE2
	v_mfma_f32_16x16x32_fp8_fp8 v[32:35], a[94:95], a[14:15], v[32:35]// 00000000E060: D3F30020 1C821D5E
	v_mfma_f32_16x16x32_fp8_fp8 v[36:39], a[64:65], a[16:17], 0// 00000000E068: D3F30024 1A022140
	v_mfma_f32_16x16x32_fp8_fp8 v[36:39], a[66:67], a[18:19], v[36:39]// 00000000E070: D3F30024 1C922542
	v_mfma_f32_16x16x32_fp8_fp8 v[36:39], a[68:69], a[20:21], v[36:39]// 00000000E078: D3F30024 1C922944
	v_mfma_f32_16x16x32_fp8_fp8 v[36:39], a[70:71], a[22:23], v[36:39]// 00000000E080: D3F30024 1C922D46
	v_mfma_f32_16x16x32_fp8_fp8 v[40:43], a[72:73], a[16:17], 0// 00000000E088: D3F30028 1A022148
	v_mfma_f32_16x16x32_fp8_fp8 v[40:43], a[74:75], a[18:19], v[40:43]// 00000000E090: D3F30028 1CA2254A
	v_mfma_f32_16x16x32_fp8_fp8 v[40:43], a[76:77], a[20:21], v[40:43]// 00000000E098: D3F30028 1CA2294C
	v_mfma_f32_16x16x32_fp8_fp8 v[40:43], a[78:79], a[22:23], v[40:43]// 00000000E0A0: D3F30028 1CA22D4E
	v_mfma_f32_16x16x32_fp8_fp8 v[44:47], a[80:81], a[16:17], 0// 00000000E0A8: D3F3002C 1A022150
	v_mfma_f32_16x16x32_fp8_fp8 v[44:47], a[82:83], a[18:19], v[44:47]// 00000000E0B0: D3F3002C 1CB22552
	v_mfma_f32_16x16x32_fp8_fp8 v[44:47], a[84:85], a[20:21], v[44:47]// 00000000E0B8: D3F3002C 1CB22954
	v_mfma_f32_16x16x32_fp8_fp8 v[44:47], a[86:87], a[22:23], v[44:47]// 00000000E0C0: D3F3002C 1CB22D56
	v_mfma_f32_16x16x32_fp8_fp8 v[48:51], a[88:89], a[16:17], 0// 00000000E0C8: D3F30030 1A022158
	v_mfma_f32_16x16x32_fp8_fp8 v[48:51], a[90:91], a[18:19], v[48:51]// 00000000E0D0: D3F30030 1CC2255A
	v_mfma_f32_16x16x32_fp8_fp8 v[48:51], a[92:93], a[20:21], v[48:51]// 00000000E0D8: D3F30030 1CC2295C
	v_mfma_f32_16x16x32_fp8_fp8 v[48:51], a[94:95], a[22:23], v[48:51]// 00000000E0E0: D3F30030 1CC22D5E
	v_mfma_f32_16x16x32_fp8_fp8 v[52:55], a[64:65], a[24:25], 0// 00000000E0E8: D3F30034 1A023140
	v_mfma_f32_16x16x32_fp8_fp8 v[52:55], a[66:67], a[26:27], v[52:55]// 00000000E0F0: D3F30034 1CD23542
	v_mfma_f32_16x16x32_fp8_fp8 v[52:55], a[68:69], a[28:29], v[52:55]// 00000000E0F8: D3F30034 1CD23944
	v_mfma_f32_16x16x32_fp8_fp8 v[52:55], a[70:71], a[30:31], v[52:55]// 00000000E100: D3F30034 1CD23D46
	v_mfma_f32_16x16x32_fp8_fp8 v[56:59], a[72:73], a[24:25], 0// 00000000E108: D3F30038 1A023148
	v_mfma_f32_16x16x32_fp8_fp8 v[56:59], a[74:75], a[26:27], v[56:59]// 00000000E110: D3F30038 1CE2354A
	v_mfma_f32_16x16x32_fp8_fp8 v[56:59], a[76:77], a[28:29], v[56:59]// 00000000E118: D3F30038 1CE2394C
	v_mfma_f32_16x16x32_fp8_fp8 v[56:59], a[78:79], a[30:31], v[56:59]// 00000000E120: D3F30038 1CE23D4E
	v_mfma_f32_16x16x32_fp8_fp8 v[60:63], a[80:81], a[24:25], 0// 00000000E128: D3F3003C 1A023150
	v_mfma_f32_16x16x32_fp8_fp8 v[60:63], a[82:83], a[26:27], v[60:63]// 00000000E130: D3F3003C 1CF23552
	v_mfma_f32_16x16x32_fp8_fp8 v[60:63], a[84:85], a[28:29], v[60:63]// 00000000E138: D3F3003C 1CF23954
	v_mfma_f32_16x16x32_fp8_fp8 v[60:63], a[86:87], a[30:31], v[60:63]// 00000000E140: D3F3003C 1CF23D56
	v_mfma_f32_16x16x32_fp8_fp8 v[64:67], a[88:89], a[24:25], 0// 00000000E148: D3F30040 1A023158
	v_mfma_f32_16x16x32_fp8_fp8 v[64:67], a[90:91], a[26:27], v[64:67]// 00000000E150: D3F30040 1D02355A
	v_mfma_f32_16x16x32_fp8_fp8 v[64:67], a[92:93], a[28:29], v[64:67]// 00000000E158: D3F30040 1D02395C
	v_mfma_f32_16x16x32_fp8_fp8 v[64:67], a[94:95], a[30:31], v[64:67]// 00000000E160: D3F30040 1D023D5E
	s_waitcnt vmcnt(16)                                        // 00000000E168: BF8C4F70
	v_pk_mul_f32 v[4:5], v[132:133], v[4:5]                    // 00000000E16C: D3B14004 18020984
	v_pk_mul_f32 v[6:7], v[132:133], v[6:7]                    // 00000000E174: D3B14006 18020D84
	v_mul_f32_dpp v4, v141, v4 row_newbcast:0 row_mask:0xf bank_mask:0xf// 00000000E17C: 0A0808FA FF01508D
	v_mul_f32_dpp v5, v141, v5 row_newbcast:1 row_mask:0xf bank_mask:0xf// 00000000E184: 0A0A0AFA FF01518D
	v_mul_f32_dpp v6, v141, v6 row_newbcast:2 row_mask:0xf bank_mask:0xf// 00000000E18C: 0A0C0CFA FF01528D
	v_mul_f32_dpp v7, v141, v7 row_newbcast:3 row_mask:0xf bank_mask:0xf// 00000000E194: 0A0E0EFA FF01538D
	v_pk_mul_f32 v[8:9], v[132:133], v[8:9]                    // 00000000E19C: D3B14008 18021184
	v_pk_mul_f32 v[10:11], v[132:133], v[10:11]                // 00000000E1A4: D3B1400A 18021584
	v_mul_f32_dpp v8, v141, v8 row_newbcast:4 row_mask:0xf bank_mask:0xf// 00000000E1AC: 0A1010FA FF01548D
	v_mul_f32_dpp v9, v141, v9 row_newbcast:5 row_mask:0xf bank_mask:0xf// 00000000E1B4: 0A1212FA FF01558D
	v_mul_f32_dpp v10, v141, v10 row_newbcast:6 row_mask:0xf bank_mask:0xf// 00000000E1BC: 0A1414FA FF01568D
	v_mul_f32_dpp v11, v141, v11 row_newbcast:7 row_mask:0xf bank_mask:0xf// 00000000E1C4: 0A1616FA FF01578D
	v_pk_mul_f32 v[12:13], v[132:133], v[12:13]                // 00000000E1CC: D3B1400C 18021984
	v_pk_mul_f32 v[14:15], v[132:133], v[14:15]                // 00000000E1D4: D3B1400E 18021D84
	v_mul_f32_dpp v12, v141, v12 row_newbcast:8 row_mask:0xf bank_mask:0xf// 00000000E1DC: 0A1818FA FF01588D
	v_mul_f32_dpp v13, v141, v13 row_newbcast:9 row_mask:0xf bank_mask:0xf// 00000000E1E4: 0A1A1AFA FF01598D
	v_mul_f32_dpp v14, v141, v14 row_newbcast:10 row_mask:0xf bank_mask:0xf// 00000000E1EC: 0A1C1CFA FF015A8D
	v_mul_f32_dpp v15, v141, v15 row_newbcast:11 row_mask:0xf bank_mask:0xf// 00000000E1F4: 0A1E1EFA FF015B8D
	v_pk_mul_f32 v[16:17], v[132:133], v[16:17]                // 00000000E1FC: D3B14010 18022184
	v_pk_mul_f32 v[18:19], v[132:133], v[18:19]                // 00000000E204: D3B14012 18022584
	v_mul_f32_dpp v16, v141, v16 row_newbcast:12 row_mask:0xf bank_mask:0xf// 00000000E20C: 0A2020FA FF015C8D
	v_mul_f32_dpp v17, v141, v17 row_newbcast:13 row_mask:0xf bank_mask:0xf// 00000000E214: 0A2222FA FF015D8D
	v_mul_f32_dpp v18, v141, v18 row_newbcast:14 row_mask:0xf bank_mask:0xf// 00000000E21C: 0A2424FA FF015E8D
	v_mul_f32_dpp v19, v141, v19 row_newbcast:15 row_mask:0xf bank_mask:0xf// 00000000E224: 0A2626FA FF015F8D
	v_pk_mul_f32 v[20:21], v[134:135], v[20:21]                // 00000000E22C: D3B14014 18022986
	v_pk_mul_f32 v[22:23], v[134:135], v[22:23]                // 00000000E234: D3B14016 18022D86
	v_mul_f32_dpp v20, v141, v20 row_newbcast:0 row_mask:0xf bank_mask:0xf// 00000000E23C: 0A2828FA FF01508D
	v_mul_f32_dpp v21, v141, v21 row_newbcast:1 row_mask:0xf bank_mask:0xf// 00000000E244: 0A2A2AFA FF01518D
	v_mul_f32_dpp v22, v141, v22 row_newbcast:2 row_mask:0xf bank_mask:0xf// 00000000E24C: 0A2C2CFA FF01528D
	v_mul_f32_dpp v23, v141, v23 row_newbcast:3 row_mask:0xf bank_mask:0xf// 00000000E254: 0A2E2EFA FF01538D
	v_pk_mul_f32 v[24:25], v[134:135], v[24:25]                // 00000000E25C: D3B14018 18023186
	v_pk_mul_f32 v[26:27], v[134:135], v[26:27]                // 00000000E264: D3B1401A 18023586
	v_mul_f32_dpp v24, v141, v24 row_newbcast:4 row_mask:0xf bank_mask:0xf// 00000000E26C: 0A3030FA FF01548D
	v_mul_f32_dpp v25, v141, v25 row_newbcast:5 row_mask:0xf bank_mask:0xf// 00000000E274: 0A3232FA FF01558D
	v_mul_f32_dpp v26, v141, v26 row_newbcast:6 row_mask:0xf bank_mask:0xf// 00000000E27C: 0A3434FA FF01568D
	v_mul_f32_dpp v27, v141, v27 row_newbcast:7 row_mask:0xf bank_mask:0xf// 00000000E284: 0A3636FA FF01578D
	v_pk_mul_f32 v[28:29], v[134:135], v[28:29]                // 00000000E28C: D3B1401C 18023986
	v_pk_mul_f32 v[30:31], v[134:135], v[30:31]                // 00000000E294: D3B1401E 18023D86
	v_mul_f32_dpp v28, v141, v28 row_newbcast:8 row_mask:0xf bank_mask:0xf// 00000000E29C: 0A3838FA FF01588D
	v_mul_f32_dpp v29, v141, v29 row_newbcast:9 row_mask:0xf bank_mask:0xf// 00000000E2A4: 0A3A3AFA FF01598D
	v_mul_f32_dpp v30, v141, v30 row_newbcast:10 row_mask:0xf bank_mask:0xf// 00000000E2AC: 0A3C3CFA FF015A8D
	v_mul_f32_dpp v31, v141, v31 row_newbcast:11 row_mask:0xf bank_mask:0xf// 00000000E2B4: 0A3E3EFA FF015B8D
	v_pk_mul_f32 v[32:33], v[134:135], v[32:33]                // 00000000E2BC: D3B14020 18024186
	v_pk_mul_f32 v[34:35], v[134:135], v[34:35]                // 00000000E2C4: D3B14022 18024586
	v_mul_f32_dpp v32, v141, v32 row_newbcast:12 row_mask:0xf bank_mask:0xf// 00000000E2CC: 0A4040FA FF015C8D
	v_mul_f32_dpp v33, v141, v33 row_newbcast:13 row_mask:0xf bank_mask:0xf// 00000000E2D4: 0A4242FA FF015D8D
	v_mul_f32_dpp v34, v141, v34 row_newbcast:14 row_mask:0xf bank_mask:0xf// 00000000E2DC: 0A4444FA FF015E8D
	v_mul_f32_dpp v35, v141, v35 row_newbcast:15 row_mask:0xf bank_mask:0xf// 00000000E2E4: 0A4646FA FF015F8D
	v_pk_mul_f32 v[36:37], v[136:137], v[36:37]                // 00000000E2EC: D3B14024 18024988
	v_pk_mul_f32 v[38:39], v[136:137], v[38:39]                // 00000000E2F4: D3B14026 18024D88
	v_mul_f32_dpp v36, v141, v36 row_newbcast:0 row_mask:0xf bank_mask:0xf// 00000000E2FC: 0A4848FA FF01508D
	v_mul_f32_dpp v37, v141, v37 row_newbcast:1 row_mask:0xf bank_mask:0xf// 00000000E304: 0A4A4AFA FF01518D
	v_mul_f32_dpp v38, v141, v38 row_newbcast:2 row_mask:0xf bank_mask:0xf// 00000000E30C: 0A4C4CFA FF01528D
	v_mul_f32_dpp v39, v141, v39 row_newbcast:3 row_mask:0xf bank_mask:0xf// 00000000E314: 0A4E4EFA FF01538D
	v_pk_mul_f32 v[40:41], v[136:137], v[40:41]                // 00000000E31C: D3B14028 18025188
	v_pk_mul_f32 v[42:43], v[136:137], v[42:43]                // 00000000E324: D3B1402A 18025588
	v_mul_f32_dpp v40, v141, v40 row_newbcast:4 row_mask:0xf bank_mask:0xf// 00000000E32C: 0A5050FA FF01548D
	v_mul_f32_dpp v41, v141, v41 row_newbcast:5 row_mask:0xf bank_mask:0xf// 00000000E334: 0A5252FA FF01558D
	v_mul_f32_dpp v42, v141, v42 row_newbcast:6 row_mask:0xf bank_mask:0xf// 00000000E33C: 0A5454FA FF01568D
	v_mul_f32_dpp v43, v141, v43 row_newbcast:7 row_mask:0xf bank_mask:0xf// 00000000E344: 0A5656FA FF01578D
	v_pk_mul_f32 v[44:45], v[136:137], v[44:45]                // 00000000E34C: D3B1402C 18025988
	v_pk_mul_f32 v[46:47], v[136:137], v[46:47]                // 00000000E354: D3B1402E 18025D88
	v_mul_f32_dpp v44, v141, v44 row_newbcast:8 row_mask:0xf bank_mask:0xf// 00000000E35C: 0A5858FA FF01588D
	v_mul_f32_dpp v45, v141, v45 row_newbcast:9 row_mask:0xf bank_mask:0xf// 00000000E364: 0A5A5AFA FF01598D
	v_mul_f32_dpp v46, v141, v46 row_newbcast:10 row_mask:0xf bank_mask:0xf// 00000000E36C: 0A5C5CFA FF015A8D
	v_mul_f32_dpp v47, v141, v47 row_newbcast:11 row_mask:0xf bank_mask:0xf// 00000000E374: 0A5E5EFA FF015B8D
	v_pk_mul_f32 v[48:49], v[136:137], v[48:49]                // 00000000E37C: D3B14030 18026188
	v_pk_mul_f32 v[50:51], v[136:137], v[50:51]                // 00000000E384: D3B14032 18026588
	v_mul_f32_dpp v48, v141, v48 row_newbcast:12 row_mask:0xf bank_mask:0xf// 00000000E38C: 0A6060FA FF015C8D
	v_mul_f32_dpp v49, v141, v49 row_newbcast:13 row_mask:0xf bank_mask:0xf// 00000000E394: 0A6262FA FF015D8D
	v_mul_f32_dpp v50, v141, v50 row_newbcast:14 row_mask:0xf bank_mask:0xf// 00000000E39C: 0A6464FA FF015E8D
	v_mul_f32_dpp v51, v141, v51 row_newbcast:15 row_mask:0xf bank_mask:0xf// 00000000E3A4: 0A6666FA FF015F8D
	v_pk_mul_f32 v[52:53], v[138:139], v[52:53]                // 00000000E3AC: D3B14034 1802698A
	v_pk_mul_f32 v[54:55], v[138:139], v[54:55]                // 00000000E3B4: D3B14036 18026D8A
	v_mul_f32_dpp v52, v141, v52 row_newbcast:0 row_mask:0xf bank_mask:0xf// 00000000E3BC: 0A6868FA FF01508D
	v_mul_f32_dpp v53, v141, v53 row_newbcast:1 row_mask:0xf bank_mask:0xf// 00000000E3C4: 0A6A6AFA FF01518D
	v_mul_f32_dpp v54, v141, v54 row_newbcast:2 row_mask:0xf bank_mask:0xf// 00000000E3CC: 0A6C6CFA FF01528D
	v_mul_f32_dpp v55, v141, v55 row_newbcast:3 row_mask:0xf bank_mask:0xf// 00000000E3D4: 0A6E6EFA FF01538D
	v_pk_mul_f32 v[56:57], v[138:139], v[56:57]                // 00000000E3DC: D3B14038 1802718A
	v_pk_mul_f32 v[58:59], v[138:139], v[58:59]                // 00000000E3E4: D3B1403A 1802758A
	v_mul_f32_dpp v56, v141, v56 row_newbcast:4 row_mask:0xf bank_mask:0xf// 00000000E3EC: 0A7070FA FF01548D
	v_mul_f32_dpp v57, v141, v57 row_newbcast:5 row_mask:0xf bank_mask:0xf// 00000000E3F4: 0A7272FA FF01558D
	v_mul_f32_dpp v58, v141, v58 row_newbcast:6 row_mask:0xf bank_mask:0xf// 00000000E3FC: 0A7474FA FF01568D
	v_mul_f32_dpp v59, v141, v59 row_newbcast:7 row_mask:0xf bank_mask:0xf// 00000000E404: 0A7676FA FF01578D
	v_pk_mul_f32 v[60:61], v[138:139], v[60:61]                // 00000000E40C: D3B1403C 1802798A
	v_pk_mul_f32 v[62:63], v[138:139], v[62:63]                // 00000000E414: D3B1403E 18027D8A
	v_mul_f32_dpp v60, v141, v60 row_newbcast:8 row_mask:0xf bank_mask:0xf// 00000000E41C: 0A7878FA FF01588D
	v_mul_f32_dpp v61, v141, v61 row_newbcast:9 row_mask:0xf bank_mask:0xf// 00000000E424: 0A7A7AFA FF01598D
	v_mul_f32_dpp v62, v141, v62 row_newbcast:10 row_mask:0xf bank_mask:0xf// 00000000E42C: 0A7C7CFA FF015A8D
	v_mul_f32_dpp v63, v141, v63 row_newbcast:11 row_mask:0xf bank_mask:0xf// 00000000E434: 0A7E7EFA FF015B8D
	v_pk_mul_f32 v[64:65], v[138:139], v[64:65]                // 00000000E43C: D3B14040 1802818A
	v_pk_mul_f32 v[66:67], v[138:139], v[66:67]                // 00000000E444: D3B14042 1802858A
	v_mul_f32_dpp v64, v141, v64 row_newbcast:12 row_mask:0xf bank_mask:0xf// 00000000E44C: 0A8080FA FF015C8D
	v_mul_f32_dpp v65, v141, v65 row_newbcast:13 row_mask:0xf bank_mask:0xf// 00000000E454: 0A8282FA FF015D8D
	v_mul_f32_dpp v66, v141, v66 row_newbcast:14 row_mask:0xf bank_mask:0xf// 00000000E45C: 0A8484FA FF015E8D
	v_mul_f32_dpp v67, v141, v67 row_newbcast:15 row_mask:0xf bank_mask:0xf// 00000000E464: 0A8686FA FF015F8D
	v_mov_b32_e32 v176, v4                                     // 00000000E46C: 7F600304
	v_max3_f32 v176, v4, v5, v176                              // 00000000E470: D1D300B0 06C20B04
	v_max3_f32 v176, v6, v7, v176                              // 00000000E478: D1D300B0 06C20F06
	v_max3_f32 v176, v8, v9, v176                              // 00000000E480: D1D300B0 06C21308
	v_max3_f32 v176, v10, v11, v176                            // 00000000E488: D1D300B0 06C2170A
	v_max3_f32 v176, v12, v13, v176                            // 00000000E490: D1D300B0 06C21B0C
	v_max3_f32 v176, v14, v15, v176                            // 00000000E498: D1D300B0 06C21F0E
	v_max3_f32 v176, v16, v17, v176                            // 00000000E4A0: D1D300B0 06C22310
	v_max3_f32 v176, v18, v19, v176                            // 00000000E4A8: D1D300B0 06C22712
	v_mov_b32_e32 v177, v20                                    // 00000000E4B0: 7F620314
	v_max3_f32 v177, v20, v21, v177                            // 00000000E4B4: D1D300B1 06C62B14
	v_max3_f32 v177, v22, v23, v177                            // 00000000E4BC: D1D300B1 06C62F16
	v_max3_f32 v177, v24, v25, v177                            // 00000000E4C4: D1D300B1 06C63318
	v_max3_f32 v177, v26, v27, v177                            // 00000000E4CC: D1D300B1 06C6371A
	v_max3_f32 v177, v28, v29, v177                            // 00000000E4D4: D1D300B1 06C63B1C
	v_max3_f32 v177, v30, v31, v177                            // 00000000E4DC: D1D300B1 06C63F1E
	v_max3_f32 v177, v32, v33, v177                            // 00000000E4E4: D1D300B1 06C64320
	v_max3_f32 v177, v34, v35, v177                            // 00000000E4EC: D1D300B1 06C64722
	v_mov_b32_e32 v178, v36                                    // 00000000E4F4: 7F640324
	v_max3_f32 v178, v36, v37, v178                            // 00000000E4F8: D1D300B2 06CA4B24
	v_max3_f32 v178, v38, v39, v178                            // 00000000E500: D1D300B2 06CA4F26
	v_max3_f32 v178, v40, v41, v178                            // 00000000E508: D1D300B2 06CA5328
	v_max3_f32 v178, v42, v43, v178                            // 00000000E510: D1D300B2 06CA572A
	v_max3_f32 v178, v44, v45, v178                            // 00000000E518: D1D300B2 06CA5B2C
	v_max3_f32 v178, v46, v47, v178                            // 00000000E520: D1D300B2 06CA5F2E
	v_max3_f32 v178, v48, v49, v178                            // 00000000E528: D1D300B2 06CA6330
	v_max3_f32 v178, v50, v51, v178                            // 00000000E530: D1D300B2 06CA6732
	v_mov_b32_e32 v179, v52                                    // 00000000E538: 7F660334
	v_max3_f32 v179, v52, v53, v179                            // 00000000E53C: D1D300B3 06CE6B34
	v_max3_f32 v179, v54, v55, v179                            // 00000000E544: D1D300B3 06CE6F36
	v_max3_f32 v179, v56, v57, v179                            // 00000000E54C: D1D300B3 06CE7338
	v_max3_f32 v179, v58, v59, v179                            // 00000000E554: D1D300B3 06CE773A
	v_max3_f32 v179, v60, v61, v179                            // 00000000E55C: D1D300B3 06CE7B3C
	v_max3_f32 v179, v62, v63, v179                            // 00000000E564: D1D300B3 06CE7F3E
	v_max3_f32 v179, v64, v65, v179                            // 00000000E56C: D1D300B3 06CE8340
	v_max3_f32 v179, v66, v67, v179                            // 00000000E574: D1D300B3 06CE8742
	v_pk_mul_f32 v[100:101], v[160:161], v[100:101]            // 00000000E57C: D3B14064 1802C9A0
	v_pk_mul_f32 v[102:103], v[160:161], v[102:103]            // 00000000E584: D3B14066 1802CDA0
	v_pk_mul_f32 v[104:105], v[160:161], v[104:105]            // 00000000E58C: D3B14068 1802D1A0
	v_pk_mul_f32 v[106:107], v[160:161], v[106:107]            // 00000000E594: D3B1406A 1802D5A0
	v_pk_mul_f32 v[108:109], v[162:163], v[108:109]            // 00000000E59C: D3B1406C 1802D9A2
	v_pk_mul_f32 v[110:111], v[162:163], v[110:111]            // 00000000E5A4: D3B1406E 1802DDA2
	v_pk_mul_f32 v[112:113], v[162:163], v[112:113]            // 00000000E5AC: D3B14070 1802E1A2
	v_pk_mul_f32 v[114:115], v[162:163], v[114:115]            // 00000000E5B4: D3B14072 1802E5A2
	v_pk_mul_f32 v[116:117], v[164:165], v[116:117]            // 00000000E5BC: D3B14074 1802E9A4
	v_pk_mul_f32 v[118:119], v[164:165], v[118:119]            // 00000000E5C4: D3B14076 1802EDA4
	v_pk_mul_f32 v[120:121], v[164:165], v[120:121]            // 00000000E5CC: D3B14078 1802F1A4
	v_pk_mul_f32 v[122:123], v[164:165], v[122:123]            // 00000000E5D4: D3B1407A 1802F5A4
	v_pk_mul_f32 v[124:125], v[166:167], v[124:125]            // 00000000E5DC: D3B1407C 1802F9A6
	v_pk_mul_f32 v[126:127], v[166:167], v[126:127]            // 00000000E5E4: D3B1407E 1802FDA6
	v_pk_mul_f32 v[128:129], v[166:167], v[128:129]            // 00000000E5EC: D3B14080 180301A6
	v_pk_mul_f32 v[130:131], v[166:167], v[130:131]            // 00000000E5F4: D3B14082 180305A6
	ds_bpermute_b32 v180, v200, v176                           // 00000000E5FC: D87E0000 B400B0C8
	ds_bpermute_b32 v181, v201, v176                           // 00000000E604: D87E0000 B500B0C9
	ds_bpermute_b32 v182, v202, v176                           // 00000000E60C: D87E0000 B600B0CA
	ds_bpermute_b32 v183, v200, v177                           // 00000000E614: D87E0000 B700B1C8
	ds_bpermute_b32 v184, v201, v177                           // 00000000E61C: D87E0000 B800B1C9
	ds_bpermute_b32 v185, v202, v177                           // 00000000E624: D87E0000 B900B1CA
	ds_bpermute_b32 v186, v200, v178                           // 00000000E62C: D87E0000 BA00B2C8
	ds_bpermute_b32 v187, v201, v178                           // 00000000E634: D87E0000 BB00B2C9
	ds_bpermute_b32 v188, v202, v178                           // 00000000E63C: D87E0000 BC00B2CA
	ds_bpermute_b32 v189, v200, v179                           // 00000000E644: D87E0000 BD00B3C8
	ds_bpermute_b32 v190, v201, v179                           // 00000000E64C: D87E0000 BE00B3C9
	ds_bpermute_b32 v191, v202, v179                           // 00000000E654: D87E0000 BF00B3CA
	s_waitcnt lgkmcnt(9)                                       // 00000000E65C: BF8CC97F
	v_max3_f32 v176, v180, v181, v176                          // 00000000E660: D1D300B0 06C36BB4
	v_max_f32_e32 v176, v182, v176                             // 00000000E668: 176161B6
	s_waitcnt lgkmcnt(6)                                       // 00000000E66C: BF8CC67F
	v_max3_f32 v177, v183, v184, v177                          // 00000000E670: D1D300B1 06C771B7
	v_max_f32_e32 v177, v185, v177                             // 00000000E678: 176363B9
	s_waitcnt lgkmcnt(3)                                       // 00000000E67C: BF8CC37F
	v_max3_f32 v178, v186, v187, v178                          // 00000000E680: D1D300B2 06CB77BA
	v_max_f32_e32 v178, v188, v178                             // 00000000E688: 176565BC
	s_waitcnt lgkmcnt(0)                                       // 00000000E68C: BF8CC07F
	v_max3_f32 v179, v189, v190, v179                          // 00000000E690: D1D300B3 06CF7DBD
	v_max_f32_e32 v179, v191, v179                             // 00000000E698: 176767BF
	ds_write_b128 v247, v[176:179]                             // 00000000E69C: D9BE0000 0000B0F7
	s_waitcnt lgkmcnt(0)                                       // 00000000E6A4: BF8CC07F
	s_barrier                                                  // 00000000E6A8: BF8A0000
	v_pk_mul_f32 v[68:69], v[144:145], v[68:69]                // 00000000E6AC: D3B14044 18028990
	v_pk_mul_f32 v[70:71], v[144:145], v[70:71]                // 00000000E6B4: D3B14046 18028D90
	v_pk_mul_f32 v[72:73], v[144:145], v[72:73]                // 00000000E6BC: D3B14048 18029190
	v_pk_mul_f32 v[74:75], v[144:145], v[74:75]                // 00000000E6C4: D3B1404A 18029590
	v_pk_mul_f32 v[76:77], v[146:147], v[76:77]                // 00000000E6CC: D3B1404C 18029992
	v_pk_mul_f32 v[78:79], v[146:147], v[78:79]                // 00000000E6D4: D3B1404E 18029D92
	v_pk_mul_f32 v[80:81], v[146:147], v[80:81]                // 00000000E6DC: D3B14050 1802A192
	v_pk_mul_f32 v[82:83], v[146:147], v[82:83]                // 00000000E6E4: D3B14052 1802A592
	v_pk_mul_f32 v[84:85], v[148:149], v[84:85]                // 00000000E6EC: D3B14054 1802A994
	v_pk_mul_f32 v[86:87], v[148:149], v[86:87]                // 00000000E6F4: D3B14056 1802AD94
	v_pk_mul_f32 v[88:89], v[148:149], v[88:89]                // 00000000E6FC: D3B14058 1802B194
	v_pk_mul_f32 v[90:91], v[148:149], v[90:91]                // 00000000E704: D3B1405A 1802B594
	v_pk_mul_f32 v[92:93], v[150:151], v[92:93]                // 00000000E70C: D3B1405C 1802B996
	v_pk_mul_f32 v[94:95], v[150:151], v[94:95]                // 00000000E714: D3B1405E 1802BD96
	v_pk_mul_f32 v[96:97], v[150:151], v[96:97]                // 00000000E71C: D3B14060 1802C196
	v_pk_mul_f32 v[98:99], v[150:151], v[98:99]                // 00000000E724: D3B14062 1802C596
	ds_read_b128 v[180:183], v248                              // 00000000E72C: D9FE0000 B40000F8
	ds_read_b128 v[184:187], v248 offset:256                   // 00000000E734: D9FE0100 B80000F8
	ds_read_b128 v[188:191], v248 offset:512                   // 00000000E73C: D9FE0200 BC0000F8
	ds_read_b128 v[192:195], v248 offset:768                   // 00000000E744: D9FE0300 C00000F8
	s_waitcnt lgkmcnt(0)                                       // 00000000E74C: BF8CC07F
	v_max3_f32 v176, v180, v184, v176                          // 00000000E750: D1D300B0 06C371B4
	v_max3_f32 v177, v181, v185, v177                          // 00000000E758: D1D300B1 06C773B5
	v_max3_f32 v178, v182, v186, v178                          // 00000000E760: D1D300B2 06CB75B6
	v_max3_f32 v179, v183, v187, v179                          // 00000000E768: D1D300B3 06CF77B7
	v_max3_f32 v176, v188, v192, v176                          // 00000000E770: D1D300B0 06C381BC
	v_max3_f32 v177, v189, v193, v177                          // 00000000E778: D1D300B1 06C783BD
	v_max3_f32 v178, v190, v194, v178                          // 00000000E780: D1D300B2 06CB85BE
	v_max3_f32 v179, v191, v195, v179                          // 00000000E788: D1D300B3 06CF87BF
	v_max_f32_e32 v156, v176, v152                             // 00000000E790: 173931B0
	v_mul_f32_e64 v196, -s46, v156                             // 00000000E794: D10500C4 2003382E
	v_mov_b32_e32 v197, v196                                   // 00000000E79C: 7F8A03C4
	v_pk_fma_f32 v[4:5], v[4:5], s[46:47], v[196:197]          // 00000000E7A0: D3B04004 1F105D04
	v_pk_fma_f32 v[6:7], v[6:7], s[46:47], v[196:197]          // 00000000E7A8: D3B04006 1F105D06
	v_exp_f32_e32 v4, v4                                       // 00000000E7B0: 7E084104
	v_exp_f32_e32 v5, v5                                       // 00000000E7B4: 7E0A4105
	v_exp_f32_e32 v6, v6                                       // 00000000E7B8: 7E0C4106
	v_exp_f32_e32 v7, v7                                       // 00000000E7BC: 7E0E4107
	v_pk_fma_f32 v[8:9], v[8:9], s[46:47], v[196:197]          // 00000000E7C0: D3B04008 1F105D08
	v_pk_fma_f32 v[10:11], v[10:11], s[46:47], v[196:197]      // 00000000E7C8: D3B0400A 1F105D0A
	v_exp_f32_e32 v8, v8                                       // 00000000E7D0: 7E104108
	v_exp_f32_e32 v9, v9                                       // 00000000E7D4: 7E124109
	v_exp_f32_e32 v10, v10                                     // 00000000E7D8: 7E14410A
	v_exp_f32_e32 v11, v11                                     // 00000000E7DC: 7E16410B
	v_pk_fma_f32 v[12:13], v[12:13], s[46:47], v[196:197]      // 00000000E7E0: D3B0400C 1F105D0C
	v_pk_fma_f32 v[14:15], v[14:15], s[46:47], v[196:197]      // 00000000E7E8: D3B0400E 1F105D0E
	v_exp_f32_e32 v12, v12                                     // 00000000E7F0: 7E18410C
	v_exp_f32_e32 v13, v13                                     // 00000000E7F4: 7E1A410D
	v_exp_f32_e32 v14, v14                                     // 00000000E7F8: 7E1C410E
	v_exp_f32_e32 v15, v15                                     // 00000000E7FC: 7E1E410F
	v_pk_fma_f32 v[16:17], v[16:17], s[46:47], v[196:197]      // 00000000E800: D3B04010 1F105D10
	v_pk_fma_f32 v[18:19], v[18:19], s[46:47], v[196:197]      // 00000000E808: D3B04012 1F105D12
	v_exp_f32_e32 v16, v16                                     // 00000000E810: 7E204110
	v_exp_f32_e32 v17, v17                                     // 00000000E814: 7E224111
	v_exp_f32_e32 v18, v18                                     // 00000000E818: 7E244112
	v_exp_f32_e32 v19, v19                                     // 00000000E81C: 7E264113
	v_max_f32_e32 v157, v177, v153                             // 00000000E820: 173B33B1
	v_mul_f32_e64 v196, -s46, v157                             // 00000000E824: D10500C4 20033A2E
	v_mov_b32_e32 v197, v196                                   // 00000000E82C: 7F8A03C4
	v_pk_fma_f32 v[20:21], v[20:21], s[46:47], v[196:197]      // 00000000E830: D3B04014 1F105D14
	v_pk_fma_f32 v[22:23], v[22:23], s[46:47], v[196:197]      // 00000000E838: D3B04016 1F105D16
	v_exp_f32_e32 v20, v20                                     // 00000000E840: 7E284114
	v_exp_f32_e32 v21, v21                                     // 00000000E844: 7E2A4115
	v_exp_f32_e32 v22, v22                                     // 00000000E848: 7E2C4116
	v_exp_f32_e32 v23, v23                                     // 00000000E84C: 7E2E4117
	v_pk_fma_f32 v[24:25], v[24:25], s[46:47], v[196:197]      // 00000000E850: D3B04018 1F105D18
	v_pk_fma_f32 v[26:27], v[26:27], s[46:47], v[196:197]      // 00000000E858: D3B0401A 1F105D1A
	v_exp_f32_e32 v24, v24                                     // 00000000E860: 7E304118
	v_exp_f32_e32 v25, v25                                     // 00000000E864: 7E324119
	v_exp_f32_e32 v26, v26                                     // 00000000E868: 7E34411A
	v_exp_f32_e32 v27, v27                                     // 00000000E86C: 7E36411B
	v_pk_fma_f32 v[28:29], v[28:29], s[46:47], v[196:197]      // 00000000E870: D3B0401C 1F105D1C
	v_pk_fma_f32 v[30:31], v[30:31], s[46:47], v[196:197]      // 00000000E878: D3B0401E 1F105D1E
	v_exp_f32_e32 v28, v28                                     // 00000000E880: 7E38411C
	v_exp_f32_e32 v29, v29                                     // 00000000E884: 7E3A411D
	v_exp_f32_e32 v30, v30                                     // 00000000E888: 7E3C411E
	v_exp_f32_e32 v31, v31                                     // 00000000E88C: 7E3E411F
	v_pk_fma_f32 v[32:33], v[32:33], s[46:47], v[196:197]      // 00000000E890: D3B04020 1F105D20
	v_pk_fma_f32 v[34:35], v[34:35], s[46:47], v[196:197]      // 00000000E898: D3B04022 1F105D22
	v_exp_f32_e32 v32, v32                                     // 00000000E8A0: 7E404120
	v_exp_f32_e32 v33, v33                                     // 00000000E8A4: 7E424121
	v_exp_f32_e32 v34, v34                                     // 00000000E8A8: 7E444122
	v_exp_f32_e32 v35, v35                                     // 00000000E8AC: 7E464123
	v_max_f32_e32 v158, v178, v154                             // 00000000E8B0: 173D35B2
	v_mul_f32_e64 v196, -s46, v158                             // 00000000E8B4: D10500C4 20033C2E
	v_mov_b32_e32 v197, v196                                   // 00000000E8BC: 7F8A03C4
	v_pk_fma_f32 v[36:37], v[36:37], s[46:47], v[196:197]      // 00000000E8C0: D3B04024 1F105D24
	v_pk_fma_f32 v[38:39], v[38:39], s[46:47], v[196:197]      // 00000000E8C8: D3B04026 1F105D26
	v_exp_f32_e32 v36, v36                                     // 00000000E8D0: 7E484124
	v_exp_f32_e32 v37, v37                                     // 00000000E8D4: 7E4A4125
	v_exp_f32_e32 v38, v38                                     // 00000000E8D8: 7E4C4126
	v_exp_f32_e32 v39, v39                                     // 00000000E8DC: 7E4E4127
	v_pk_fma_f32 v[40:41], v[40:41], s[46:47], v[196:197]      // 00000000E8E0: D3B04028 1F105D28
	v_pk_fma_f32 v[42:43], v[42:43], s[46:47], v[196:197]      // 00000000E8E8: D3B0402A 1F105D2A
	v_exp_f32_e32 v40, v40                                     // 00000000E8F0: 7E504128
	v_exp_f32_e32 v41, v41                                     // 00000000E8F4: 7E524129
	v_exp_f32_e32 v42, v42                                     // 00000000E8F8: 7E54412A
	v_exp_f32_e32 v43, v43                                     // 00000000E8FC: 7E56412B
	v_pk_fma_f32 v[44:45], v[44:45], s[46:47], v[196:197]      // 00000000E900: D3B0402C 1F105D2C
	v_pk_fma_f32 v[46:47], v[46:47], s[46:47], v[196:197]      // 00000000E908: D3B0402E 1F105D2E
	v_exp_f32_e32 v44, v44                                     // 00000000E910: 7E58412C
	v_exp_f32_e32 v45, v45                                     // 00000000E914: 7E5A412D
	v_exp_f32_e32 v46, v46                                     // 00000000E918: 7E5C412E
	v_exp_f32_e32 v47, v47                                     // 00000000E91C: 7E5E412F
	v_pk_fma_f32 v[48:49], v[48:49], s[46:47], v[196:197]      // 00000000E920: D3B04030 1F105D30
	v_pk_fma_f32 v[50:51], v[50:51], s[46:47], v[196:197]      // 00000000E928: D3B04032 1F105D32
	v_exp_f32_e32 v48, v48                                     // 00000000E930: 7E604130
	v_exp_f32_e32 v49, v49                                     // 00000000E934: 7E624131
	v_exp_f32_e32 v50, v50                                     // 00000000E938: 7E644132
	v_exp_f32_e32 v51, v51                                     // 00000000E93C: 7E664133
	v_max_f32_e32 v159, v179, v155                             // 00000000E940: 173F37B3
	v_mul_f32_e64 v196, -s46, v159                             // 00000000E944: D10500C4 20033E2E
	v_mov_b32_e32 v197, v196                                   // 00000000E94C: 7F8A03C4
	v_pk_fma_f32 v[52:53], v[52:53], s[46:47], v[196:197]      // 00000000E950: D3B04034 1F105D34
	v_pk_fma_f32 v[54:55], v[54:55], s[46:47], v[196:197]      // 00000000E958: D3B04036 1F105D36
	v_exp_f32_e32 v52, v52                                     // 00000000E960: 7E684134
	v_exp_f32_e32 v53, v53                                     // 00000000E964: 7E6A4135
	v_exp_f32_e32 v54, v54                                     // 00000000E968: 7E6C4136
	v_exp_f32_e32 v55, v55                                     // 00000000E96C: 7E6E4137
	v_pk_fma_f32 v[56:57], v[56:57], s[46:47], v[196:197]      // 00000000E970: D3B04038 1F105D38
	v_pk_fma_f32 v[58:59], v[58:59], s[46:47], v[196:197]      // 00000000E978: D3B0403A 1F105D3A
	v_exp_f32_e32 v56, v56                                     // 00000000E980: 7E704138
	v_exp_f32_e32 v57, v57                                     // 00000000E984: 7E724139
	v_exp_f32_e32 v58, v58                                     // 00000000E988: 7E74413A
	v_exp_f32_e32 v59, v59                                     // 00000000E98C: 7E76413B
	v_pk_fma_f32 v[60:61], v[60:61], s[46:47], v[196:197]      // 00000000E990: D3B0403C 1F105D3C
	v_pk_fma_f32 v[62:63], v[62:63], s[46:47], v[196:197]      // 00000000E998: D3B0403E 1F105D3E
	v_exp_f32_e32 v60, v60                                     // 00000000E9A0: 7E78413C
	v_exp_f32_e32 v61, v61                                     // 00000000E9A4: 7E7A413D
	v_exp_f32_e32 v62, v62                                     // 00000000E9A8: 7E7C413E
	v_exp_f32_e32 v63, v63                                     // 00000000E9AC: 7E7E413F
	v_pk_fma_f32 v[64:65], v[64:65], s[46:47], v[196:197]      // 00000000E9B0: D3B04040 1F105D40
	v_pk_fma_f32 v[66:67], v[66:67], s[46:47], v[196:197]      // 00000000E9B8: D3B04042 1F105D42
	v_exp_f32_e32 v64, v64                                     // 00000000E9C0: 7E804140
	v_exp_f32_e32 v65, v65                                     // 00000000E9C4: 7E824141
	v_exp_f32_e32 v66, v66                                     // 00000000E9C8: 7E844142
	v_exp_f32_e32 v67, v67                                     // 00000000E9CC: 7E864143
	v_sub_f32_e32 v160, v152, v156                             // 00000000E9D0: 05413998
	v_cmp_eq_u32_e64 s[98:99], v216, v152                      // 00000000E9D4: D0CA0062 000331D8
	v_cndmask_b32_e64 v160, v160, 0, s[98:99]                  // 00000000E9DC: D10000A0 018901A0
	v_mov_b32_e32 v152, v156                                   // 00000000E9E4: 7F30039C
	v_mul_f32_e32 v160, s46, v160                              // 00000000E9E8: 0B41402E
	v_exp_f32_e32 v160, v160                                   // 00000000E9EC: 7F4041A0
	v_sub_f32_e32 v162, v153, v157                             // 00000000E9F0: 05453B99
	v_cmp_eq_u32_e64 s[98:99], v216, v153                      // 00000000E9F4: D0CA0062 000333D8
	v_cndmask_b32_e64 v162, v162, 0, s[98:99]                  // 00000000E9FC: D10000A2 018901A2
	v_mov_b32_e32 v153, v157                                   // 00000000EA04: 7F32039D
	v_mul_f32_e32 v162, s46, v162                              // 00000000EA08: 0B45442E
	v_exp_f32_e32 v162, v162                                   // 00000000EA0C: 7F4441A2
	v_sub_f32_e32 v164, v154, v158                             // 00000000EA10: 05493D9A
	v_cmp_eq_u32_e64 s[98:99], v216, v154                      // 00000000EA14: D0CA0062 000335D8
	v_cndmask_b32_e64 v164, v164, 0, s[98:99]                  // 00000000EA1C: D10000A4 018901A4
	v_mov_b32_e32 v154, v158                                   // 00000000EA24: 7F34039E
	v_mul_f32_e32 v164, s46, v164                              // 00000000EA28: 0B49482E
	v_exp_f32_e32 v164, v164                                   // 00000000EA2C: 7F4841A4
	v_sub_f32_e32 v166, v155, v159                             // 00000000EA30: 054D3F9B
	v_cmp_eq_u32_e64 s[98:99], v216, v155                      // 00000000EA34: D0CA0062 000337D8
	v_cndmask_b32_e64 v166, v166, 0, s[98:99]                  // 00000000EA3C: D10000A6 018901A6
	v_mov_b32_e32 v155, v159                                   // 00000000EA44: 7F36039F
	v_mul_f32_e32 v166, s46, v166                              // 00000000EA48: 0B4D4C2E
	v_exp_f32_e32 v166, v166                                   // 00000000EA4C: 7F4C41A6
	v_mov_b32_e32 v161, v160                                   // 00000000EA50: 7F4203A0
	v_mov_b32_e32 v163, v162                                   // 00000000EA54: 7F4603A2
	v_mov_b32_e32 v165, v164                                   // 00000000EA58: 7F4A03A4
	v_mov_b32_e32 v167, v166                                   // 00000000EA5C: 7F4E03A6
	v_mul_f32_e32 v168, v160, v168                             // 00000000EA60: 0B5151A0
	v_mov_b32_e32 v169, 0                                      // 00000000EA64: 7F520280
	v_pk_add_f32 v[168:169], v[4:5], v[168:169]                // 00000000EA68: D3B240A8 18035104
	v_pk_add_f32 v[168:169], v[6:7], v[168:169]                // 00000000EA70: D3B240A8 18035106
	v_pk_add_f32 v[168:169], v[8:9], v[168:169]                // 00000000EA78: D3B240A8 18035108
	v_pk_add_f32 v[168:169], v[10:11], v[168:169]              // 00000000EA80: D3B240A8 1803510A
	v_pk_add_f32 v[168:169], v[12:13], v[168:169]              // 00000000EA88: D3B240A8 1803510C
	v_pk_add_f32 v[168:169], v[14:15], v[168:169]              // 00000000EA90: D3B240A8 1803510E
	v_pk_add_f32 v[168:169], v[16:17], v[168:169]              // 00000000EA98: D3B240A8 18035110
	v_pk_add_f32 v[168:169], v[18:19], v[168:169]              // 00000000EAA0: D3B240A8 18035112
	v_add_f32_e32 v168, v169, v168                             // 00000000EAA8: 035151A9
	v_mul_f32_e32 v170, v162, v170                             // 00000000EAAC: 0B5555A2
	v_mov_b32_e32 v171, 0                                      // 00000000EAB0: 7F560280
	v_pk_add_f32 v[170:171], v[20:21], v[170:171]              // 00000000EAB4: D3B240AA 18035514
	v_pk_add_f32 v[170:171], v[22:23], v[170:171]              // 00000000EABC: D3B240AA 18035516
	v_pk_add_f32 v[170:171], v[24:25], v[170:171]              // 00000000EAC4: D3B240AA 18035518
	v_pk_add_f32 v[170:171], v[26:27], v[170:171]              // 00000000EACC: D3B240AA 1803551A
	v_pk_add_f32 v[170:171], v[28:29], v[170:171]              // 00000000EAD4: D3B240AA 1803551C
	v_pk_add_f32 v[170:171], v[30:31], v[170:171]              // 00000000EADC: D3B240AA 1803551E
	v_pk_add_f32 v[170:171], v[32:33], v[170:171]              // 00000000EAE4: D3B240AA 18035520
	v_pk_add_f32 v[170:171], v[34:35], v[170:171]              // 00000000EAEC: D3B240AA 18035522
	v_add_f32_e32 v170, v171, v170                             // 00000000EAF4: 035555AB
	v_mul_f32_e32 v172, v164, v172                             // 00000000EAF8: 0B5959A4
	v_mov_b32_e32 v173, 0                                      // 00000000EAFC: 7F5A0280
	v_pk_add_f32 v[172:173], v[36:37], v[172:173]              // 00000000EB00: D3B240AC 18035924
	v_pk_add_f32 v[172:173], v[38:39], v[172:173]              // 00000000EB08: D3B240AC 18035926
	v_pk_add_f32 v[172:173], v[40:41], v[172:173]              // 00000000EB10: D3B240AC 18035928
	v_pk_add_f32 v[172:173], v[42:43], v[172:173]              // 00000000EB18: D3B240AC 1803592A
	v_pk_add_f32 v[172:173], v[44:45], v[172:173]              // 00000000EB20: D3B240AC 1803592C
	v_pk_add_f32 v[172:173], v[46:47], v[172:173]              // 00000000EB28: D3B240AC 1803592E
	v_pk_add_f32 v[172:173], v[48:49], v[172:173]              // 00000000EB30: D3B240AC 18035930
	v_pk_add_f32 v[172:173], v[50:51], v[172:173]              // 00000000EB38: D3B240AC 18035932
	v_add_f32_e32 v172, v173, v172                             // 00000000EB40: 035959AD
	v_mul_f32_e32 v174, v166, v174                             // 00000000EB44: 0B5D5DA6
	v_mov_b32_e32 v175, 0                                      // 00000000EB48: 7F5E0280
	v_pk_add_f32 v[174:175], v[52:53], v[174:175]              // 00000000EB4C: D3B240AE 18035D34
	v_pk_add_f32 v[174:175], v[54:55], v[174:175]              // 00000000EB54: D3B240AE 18035D36
	v_pk_add_f32 v[174:175], v[56:57], v[174:175]              // 00000000EB5C: D3B240AE 18035D38
	v_pk_add_f32 v[174:175], v[58:59], v[174:175]              // 00000000EB64: D3B240AE 18035D3A
	v_pk_add_f32 v[174:175], v[60:61], v[174:175]              // 00000000EB6C: D3B240AE 18035D3C
	v_pk_add_f32 v[174:175], v[62:63], v[174:175]              // 00000000EB74: D3B240AE 18035D3E
	v_pk_add_f32 v[174:175], v[64:65], v[174:175]              // 00000000EB7C: D3B240AE 18035D40
	v_pk_add_f32 v[174:175], v[66:67], v[174:175]              // 00000000EB84: D3B240AE 18035D42
	v_add_f32_e32 v174, v175, v174                             // 00000000EB8C: 035D5DAF
	v_mul_f32_dpp v4, v143, v4 row_newbcast:0 row_mask:0xf bank_mask:0xf// 00000000EB90: 0A0808FA FF01508F
	v_mul_f32_dpp v5, v143, v5 row_newbcast:1 row_mask:0xf bank_mask:0xf// 00000000EB98: 0A0A0AFA FF01518F
	v_mul_f32_dpp v6, v143, v6 row_newbcast:2 row_mask:0xf bank_mask:0xf// 00000000EBA0: 0A0C0CFA FF01528F
	v_mul_f32_dpp v7, v143, v7 row_newbcast:3 row_mask:0xf bank_mask:0xf// 00000000EBA8: 0A0E0EFA FF01538F
	v_mul_f32_dpp v8, v143, v8 row_newbcast:4 row_mask:0xf bank_mask:0xf// 00000000EBB0: 0A1010FA FF01548F
	v_mul_f32_dpp v9, v143, v9 row_newbcast:5 row_mask:0xf bank_mask:0xf// 00000000EBB8: 0A1212FA FF01558F
	v_mul_f32_dpp v10, v143, v10 row_newbcast:6 row_mask:0xf bank_mask:0xf// 00000000EBC0: 0A1414FA FF01568F
	v_mul_f32_dpp v11, v143, v11 row_newbcast:7 row_mask:0xf bank_mask:0xf// 00000000EBC8: 0A1616FA FF01578F
	v_mul_f32_dpp v12, v143, v12 row_newbcast:8 row_mask:0xf bank_mask:0xf// 00000000EBD0: 0A1818FA FF01588F
	v_mul_f32_dpp v13, v143, v13 row_newbcast:9 row_mask:0xf bank_mask:0xf// 00000000EBD8: 0A1A1AFA FF01598F
	v_mul_f32_dpp v14, v143, v14 row_newbcast:10 row_mask:0xf bank_mask:0xf// 00000000EBE0: 0A1C1CFA FF015A8F
	v_mul_f32_dpp v15, v143, v15 row_newbcast:11 row_mask:0xf bank_mask:0xf// 00000000EBE8: 0A1E1EFA FF015B8F
	v_mul_f32_dpp v16, v143, v16 row_newbcast:12 row_mask:0xf bank_mask:0xf// 00000000EBF0: 0A2020FA FF015C8F
	v_mul_f32_dpp v17, v143, v17 row_newbcast:13 row_mask:0xf bank_mask:0xf// 00000000EBF8: 0A2222FA FF015D8F
	v_mul_f32_dpp v18, v143, v18 row_newbcast:14 row_mask:0xf bank_mask:0xf// 00000000EC00: 0A2424FA FF015E8F
	v_mul_f32_dpp v19, v143, v19 row_newbcast:15 row_mask:0xf bank_mask:0xf// 00000000EC08: 0A2626FA FF015F8F
	v_mul_f32_dpp v20, v143, v20 row_newbcast:0 row_mask:0xf bank_mask:0xf// 00000000EC10: 0A2828FA FF01508F
	v_mul_f32_dpp v21, v143, v21 row_newbcast:1 row_mask:0xf bank_mask:0xf// 00000000EC18: 0A2A2AFA FF01518F
	v_mul_f32_dpp v22, v143, v22 row_newbcast:2 row_mask:0xf bank_mask:0xf// 00000000EC20: 0A2C2CFA FF01528F
	v_mul_f32_dpp v23, v143, v23 row_newbcast:3 row_mask:0xf bank_mask:0xf// 00000000EC28: 0A2E2EFA FF01538F
	v_mul_f32_dpp v24, v143, v24 row_newbcast:4 row_mask:0xf bank_mask:0xf// 00000000EC30: 0A3030FA FF01548F
	v_mul_f32_dpp v25, v143, v25 row_newbcast:5 row_mask:0xf bank_mask:0xf// 00000000EC38: 0A3232FA FF01558F
	v_mul_f32_dpp v26, v143, v26 row_newbcast:6 row_mask:0xf bank_mask:0xf// 00000000EC40: 0A3434FA FF01568F
	v_mul_f32_dpp v27, v143, v27 row_newbcast:7 row_mask:0xf bank_mask:0xf// 00000000EC48: 0A3636FA FF01578F
	v_mul_f32_dpp v28, v143, v28 row_newbcast:8 row_mask:0xf bank_mask:0xf// 00000000EC50: 0A3838FA FF01588F
	v_mul_f32_dpp v29, v143, v29 row_newbcast:9 row_mask:0xf bank_mask:0xf// 00000000EC58: 0A3A3AFA FF01598F
	v_mul_f32_dpp v30, v143, v30 row_newbcast:10 row_mask:0xf bank_mask:0xf// 00000000EC60: 0A3C3CFA FF015A8F
	v_mul_f32_dpp v31, v143, v31 row_newbcast:11 row_mask:0xf bank_mask:0xf// 00000000EC68: 0A3E3EFA FF015B8F
	v_mul_f32_dpp v32, v143, v32 row_newbcast:12 row_mask:0xf bank_mask:0xf// 00000000EC70: 0A4040FA FF015C8F
	v_mul_f32_dpp v33, v143, v33 row_newbcast:13 row_mask:0xf bank_mask:0xf// 00000000EC78: 0A4242FA FF015D8F
	v_mul_f32_dpp v34, v143, v34 row_newbcast:14 row_mask:0xf bank_mask:0xf// 00000000EC80: 0A4444FA FF015E8F
	v_mul_f32_dpp v35, v143, v35 row_newbcast:15 row_mask:0xf bank_mask:0xf// 00000000EC88: 0A4646FA FF015F8F
	v_mul_f32_dpp v36, v143, v36 row_newbcast:0 row_mask:0xf bank_mask:0xf// 00000000EC90: 0A4848FA FF01508F
	v_mul_f32_dpp v37, v143, v37 row_newbcast:1 row_mask:0xf bank_mask:0xf// 00000000EC98: 0A4A4AFA FF01518F
	v_mul_f32_dpp v38, v143, v38 row_newbcast:2 row_mask:0xf bank_mask:0xf// 00000000ECA0: 0A4C4CFA FF01528F
	v_mul_f32_dpp v39, v143, v39 row_newbcast:3 row_mask:0xf bank_mask:0xf// 00000000ECA8: 0A4E4EFA FF01538F
	v_mul_f32_dpp v40, v143, v40 row_newbcast:4 row_mask:0xf bank_mask:0xf// 00000000ECB0: 0A5050FA FF01548F
	v_mul_f32_dpp v41, v143, v41 row_newbcast:5 row_mask:0xf bank_mask:0xf// 00000000ECB8: 0A5252FA FF01558F
	v_mul_f32_dpp v42, v143, v42 row_newbcast:6 row_mask:0xf bank_mask:0xf// 00000000ECC0: 0A5454FA FF01568F
	v_mul_f32_dpp v43, v143, v43 row_newbcast:7 row_mask:0xf bank_mask:0xf// 00000000ECC8: 0A5656FA FF01578F
	v_mul_f32_dpp v44, v143, v44 row_newbcast:8 row_mask:0xf bank_mask:0xf// 00000000ECD0: 0A5858FA FF01588F
	v_mul_f32_dpp v45, v143, v45 row_newbcast:9 row_mask:0xf bank_mask:0xf// 00000000ECD8: 0A5A5AFA FF01598F
	v_mul_f32_dpp v46, v143, v46 row_newbcast:10 row_mask:0xf bank_mask:0xf// 00000000ECE0: 0A5C5CFA FF015A8F
	v_mul_f32_dpp v47, v143, v47 row_newbcast:11 row_mask:0xf bank_mask:0xf// 00000000ECE8: 0A5E5EFA FF015B8F
	v_mul_f32_dpp v48, v143, v48 row_newbcast:12 row_mask:0xf bank_mask:0xf// 00000000ECF0: 0A6060FA FF015C8F
	v_mul_f32_dpp v49, v143, v49 row_newbcast:13 row_mask:0xf bank_mask:0xf// 00000000ECF8: 0A6262FA FF015D8F
	v_mul_f32_dpp v50, v143, v50 row_newbcast:14 row_mask:0xf bank_mask:0xf// 00000000ED00: 0A6464FA FF015E8F
	v_mul_f32_dpp v51, v143, v51 row_newbcast:15 row_mask:0xf bank_mask:0xf// 00000000ED08: 0A6666FA FF015F8F
	v_mul_f32_dpp v52, v143, v52 row_newbcast:0 row_mask:0xf bank_mask:0xf// 00000000ED10: 0A6868FA FF01508F
	v_mul_f32_dpp v53, v143, v53 row_newbcast:1 row_mask:0xf bank_mask:0xf// 00000000ED18: 0A6A6AFA FF01518F
	v_mul_f32_dpp v54, v143, v54 row_newbcast:2 row_mask:0xf bank_mask:0xf// 00000000ED20: 0A6C6CFA FF01528F
	v_mul_f32_dpp v55, v143, v55 row_newbcast:3 row_mask:0xf bank_mask:0xf// 00000000ED28: 0A6E6EFA FF01538F
	v_mul_f32_dpp v56, v143, v56 row_newbcast:4 row_mask:0xf bank_mask:0xf// 00000000ED30: 0A7070FA FF01548F
	v_mul_f32_dpp v57, v143, v57 row_newbcast:5 row_mask:0xf bank_mask:0xf// 00000000ED38: 0A7272FA FF01558F
	v_mul_f32_dpp v58, v143, v58 row_newbcast:6 row_mask:0xf bank_mask:0xf// 00000000ED40: 0A7474FA FF01568F
	v_mul_f32_dpp v59, v143, v59 row_newbcast:7 row_mask:0xf bank_mask:0xf// 00000000ED48: 0A7676FA FF01578F
	v_mul_f32_dpp v60, v143, v60 row_newbcast:8 row_mask:0xf bank_mask:0xf// 00000000ED50: 0A7878FA FF01588F
	v_mul_f32_dpp v61, v143, v61 row_newbcast:9 row_mask:0xf bank_mask:0xf// 00000000ED58: 0A7A7AFA FF01598F
	v_mul_f32_dpp v62, v143, v62 row_newbcast:10 row_mask:0xf bank_mask:0xf// 00000000ED60: 0A7C7CFA FF015A8F
	v_mul_f32_dpp v63, v143, v63 row_newbcast:11 row_mask:0xf bank_mask:0xf// 00000000ED68: 0A7E7EFA FF015B8F
	v_mul_f32_dpp v64, v143, v64 row_newbcast:12 row_mask:0xf bank_mask:0xf// 00000000ED70: 0A8080FA FF015C8F
	v_mul_f32_dpp v65, v143, v65 row_newbcast:13 row_mask:0xf bank_mask:0xf// 00000000ED78: 0A8282FA FF015D8F
	v_mul_f32_dpp v66, v143, v66 row_newbcast:14 row_mask:0xf bank_mask:0xf// 00000000ED80: 0A8484FA FF015E8F
	v_mul_f32_dpp v67, v143, v67 row_newbcast:15 row_mask:0xf bank_mask:0xf// 00000000ED88: 0A8686FA FF015F8F
	v_mov_b32_e32 v176, 0x358637bd                             // 00000000ED90: 7F6002FF 358637BD
	v_max3_f32 v176, |v4|, |v5|, v176                          // 00000000ED98: D1D303B0 06C20B04
	v_max3_f32 v176, |v6|, |v7|, v176                          // 00000000EDA0: D1D303B0 06C20F06
	v_max3_f32 v176, |v8|, |v9|, v176                          // 00000000EDA8: D1D303B0 06C21308
	v_max3_f32 v176, |v10|, |v11|, v176                        // 00000000EDB0: D1D303B0 06C2170A
	v_max3_f32 v176, |v12|, |v13|, v176                        // 00000000EDB8: D1D303B0 06C21B0C
	v_max3_f32 v176, |v14|, |v15|, v176                        // 00000000EDC0: D1D303B0 06C21F0E
	v_max3_f32 v176, |v16|, |v17|, v176                        // 00000000EDC8: D1D303B0 06C22310
	v_max3_f32 v176, |v18|, |v19|, v176                        // 00000000EDD0: D1D303B0 06C22712
	v_mov_b32_e32 v177, 0x358637bd                             // 00000000EDD8: 7F6202FF 358637BD
	v_max3_f32 v177, |v20|, |v21|, v177                        // 00000000EDE0: D1D303B1 06C62B14
	v_max3_f32 v177, |v22|, |v23|, v177                        // 00000000EDE8: D1D303B1 06C62F16
	v_max3_f32 v177, |v24|, |v25|, v177                        // 00000000EDF0: D1D303B1 06C63318
	v_max3_f32 v177, |v26|, |v27|, v177                        // 00000000EDF8: D1D303B1 06C6371A
	v_max3_f32 v177, |v28|, |v29|, v177                        // 00000000EE00: D1D303B1 06C63B1C
	v_max3_f32 v177, |v30|, |v31|, v177                        // 00000000EE08: D1D303B1 06C63F1E
	v_max3_f32 v177, |v32|, |v33|, v177                        // 00000000EE10: D1D303B1 06C64320
	v_max3_f32 v177, |v34|, |v35|, v177                        // 00000000EE18: D1D303B1 06C64722
	v_mov_b32_e32 v178, 0x358637bd                             // 00000000EE20: 7F6402FF 358637BD
	v_max3_f32 v178, |v36|, |v37|, v178                        // 00000000EE28: D1D303B2 06CA4B24
	v_max3_f32 v178, |v38|, |v39|, v178                        // 00000000EE30: D1D303B2 06CA4F26
	v_max3_f32 v178, |v40|, |v41|, v178                        // 00000000EE38: D1D303B2 06CA5328
	v_max3_f32 v178, |v42|, |v43|, v178                        // 00000000EE40: D1D303B2 06CA572A
	v_max3_f32 v178, |v44|, |v45|, v178                        // 00000000EE48: D1D303B2 06CA5B2C
	v_max3_f32 v178, |v46|, |v47|, v178                        // 00000000EE50: D1D303B2 06CA5F2E
	v_max3_f32 v178, |v48|, |v49|, v178                        // 00000000EE58: D1D303B2 06CA6330
	v_max3_f32 v178, |v50|, |v51|, v178                        // 00000000EE60: D1D303B2 06CA6732
	v_mov_b32_e32 v179, 0x358637bd                             // 00000000EE68: 7F6602FF 358637BD
	v_max3_f32 v179, |v52|, |v53|, v179                        // 00000000EE70: D1D303B3 06CE6B34
	v_max3_f32 v179, |v54|, |v55|, v179                        // 00000000EE78: D1D303B3 06CE6F36
	v_max3_f32 v179, |v56|, |v57|, v179                        // 00000000EE80: D1D303B3 06CE7338
	v_max3_f32 v179, |v58|, |v59|, v179                        // 00000000EE88: D1D303B3 06CE773A
	v_max3_f32 v179, |v60|, |v61|, v179                        // 00000000EE90: D1D303B3 06CE7B3C
	v_max3_f32 v179, |v62|, |v63|, v179                        // 00000000EE98: D1D303B3 06CE7F3E
	v_max3_f32 v179, |v64|, |v65|, v179                        // 00000000EEA0: D1D303B3 06CE8340
	v_max3_f32 v179, |v66|, |v67|, v179                        // 00000000EEA8: D1D303B3 06CE8742
	ds_bpermute_b32 v180, v200, v176                           // 00000000EEB0: D87E0000 B400B0C8
	ds_bpermute_b32 v181, v201, v176                           // 00000000EEB8: D87E0000 B500B0C9
	ds_bpermute_b32 v182, v202, v176                           // 00000000EEC0: D87E0000 B600B0CA
	ds_bpermute_b32 v183, v200, v177                           // 00000000EEC8: D87E0000 B700B1C8
	ds_bpermute_b32 v184, v201, v177                           // 00000000EED0: D87E0000 B800B1C9
	ds_bpermute_b32 v185, v202, v177                           // 00000000EED8: D87E0000 B900B1CA
	ds_bpermute_b32 v186, v200, v178                           // 00000000EEE0: D87E0000 BA00B2C8
	ds_bpermute_b32 v187, v201, v178                           // 00000000EEE8: D87E0000 BB00B2C9
	ds_bpermute_b32 v188, v202, v178                           // 00000000EEF0: D87E0000 BC00B2CA
	ds_bpermute_b32 v189, v200, v179                           // 00000000EEF8: D87E0000 BD00B3C8
	ds_bpermute_b32 v190, v201, v179                           // 00000000EF00: D87E0000 BE00B3C9
	ds_bpermute_b32 v191, v202, v179                           // 00000000EF08: D87E0000 BF00B3CA
	s_waitcnt lgkmcnt(9)                                       // 00000000EF10: BF8CC97F
	v_max3_f32 v176, v180, v181, v176                          // 00000000EF14: D1D300B0 06C36BB4
	v_max_f32_e32 v176, v182, v176                             // 00000000EF1C: 176161B6
	s_waitcnt lgkmcnt(6)                                       // 00000000EF20: BF8CC67F
	v_max3_f32 v177, v183, v184, v177                          // 00000000EF24: D1D300B1 06C771B7
	v_max_f32_e32 v177, v185, v177                             // 00000000EF2C: 176363B9
	s_waitcnt lgkmcnt(3)                                       // 00000000EF30: BF8CC37F
	v_max3_f32 v178, v186, v187, v178                          // 00000000EF34: D1D300B2 06CB77BA
	v_max_f32_e32 v178, v188, v178                             // 00000000EF3C: 176565BC
	s_waitcnt lgkmcnt(0)                                       // 00000000EF40: BF8CC07F
	v_max3_f32 v179, v189, v190, v179                          // 00000000EF44: D1D300B3 06CF7DBD
	v_max_f32_e32 v179, v191, v179                             // 00000000EF4C: 176767BF
	ds_write_b128 v247, v[176:179] offset:4096                 // 00000000EF50: D9BE1000 0000B0F7
	buffer_load_dword v140, v231, s[20:23], 0 offen            // 00000000EF58: E0501000 80058CE7
	s_waitcnt lgkmcnt(0)                                       // 00000000EF60: BF8CC07F
	s_barrier                                                  // 00000000EF64: BF8A0000
	buffer_load_dword v142, v232, s[24:27], 0 offen            // 00000000EF68: E0501000 80068EE8
	ds_read_b128 v[180:183], v248 offset:4096                  // 00000000EF70: D9FE1000 B40000F8
	ds_read_b128 v[184:187], v248 offset:4352                  // 00000000EF78: D9FE1100 B80000F8
	ds_read_b128 v[188:191], v248 offset:4608                  // 00000000EF80: D9FE1200 BC0000F8
	ds_read_b128 v[192:195], v248 offset:4864                  // 00000000EF88: D9FE1300 C00000F8
	s_waitcnt lgkmcnt(0)                                       // 00000000EF90: BF8CC07F
	v_max3_f32 v176, v180, v184, v176                          // 00000000EF94: D1D300B0 06C371B4
	v_max3_f32 v177, v181, v185, v177                          // 00000000EF9C: D1D300B1 06C773B5
	v_max3_f32 v178, v182, v186, v178                          // 00000000EFA4: D1D300B2 06CB75B6
	v_max3_f32 v179, v183, v187, v179                          // 00000000EFAC: D1D300B3 06CF77B7
	v_max3_f32 v176, v188, v192, v176                          // 00000000EFB4: D1D300B0 06C381BC
	v_max3_f32 v177, v189, v193, v177                          // 00000000EFBC: D1D300B1 06C783BD
	v_max3_f32 v178, v190, v194, v178                          // 00000000EFC4: D1D300B2 06CB85BE
	v_max3_f32 v179, v191, v195, v179                          // 00000000EFCC: D1D300B3 06CF87BF
	v_rcp_f32_e32 v176, v176                                   // 00000000EFD4: 7F6045B0
	v_rcp_f32_e32 v177, v177                                   // 00000000EFD8: 7F6245B1
	v_rcp_f32_e32 v178, v178                                   // 00000000EFDC: 7F6445B2
	v_rcp_f32_e32 v179, v179                                   // 00000000EFE0: 7F6645B3
	v_mul_f32_e32 v176, 0x43700000, v176                       // 00000000EFE4: 0B6160FF 43700000
	v_mul_f32_e32 v177, 0x43700000, v177                       // 00000000EFEC: 0B6362FF 43700000
	v_mul_f32_e32 v178, 0x43700000, v178                       // 00000000EFF4: 0B6564FF 43700000
	v_mul_f32_e32 v179, 0x43700000, v179                       // 00000000EFFC: 0B6766FF 43700000
	v_mul_f32_e32 v4, v176, v4                                 // 00000000F004: 0A0809B0
	v_mul_f32_e32 v5, v176, v5                                 // 00000000F008: 0A0A0BB0
	v_mul_f32_e32 v6, v176, v6                                 // 00000000F00C: 0A0C0DB0
	v_mul_f32_e32 v7, v176, v7                                 // 00000000F010: 0A0E0FB0
	v_mul_f32_e32 v8, v176, v8                                 // 00000000F014: 0A1011B0
	v_mul_f32_e32 v9, v176, v9                                 // 00000000F018: 0A1213B0
	v_mul_f32_e32 v10, v176, v10                               // 00000000F01C: 0A1415B0
	v_mul_f32_e32 v11, v176, v11                               // 00000000F020: 0A1617B0
	v_mul_f32_e32 v12, v176, v12                               // 00000000F024: 0A1819B0
	v_mul_f32_e32 v13, v176, v13                               // 00000000F028: 0A1A1BB0
	v_mul_f32_e32 v14, v176, v14                               // 00000000F02C: 0A1C1DB0
	v_mul_f32_e32 v15, v176, v15                               // 00000000F030: 0A1E1FB0
	v_mul_f32_e32 v16, v176, v16                               // 00000000F034: 0A2021B0
	v_mul_f32_e32 v17, v176, v17                               // 00000000F038: 0A2223B0
	v_mul_f32_e32 v18, v176, v18                               // 00000000F03C: 0A2425B0
	v_mul_f32_e32 v19, v176, v19                               // 00000000F040: 0A2627B0
	v_mul_f32_e32 v20, v177, v20                               // 00000000F044: 0A2829B1
	v_mul_f32_e32 v21, v177, v21                               // 00000000F048: 0A2A2BB1
	v_mul_f32_e32 v22, v177, v22                               // 00000000F04C: 0A2C2DB1
	v_mul_f32_e32 v23, v177, v23                               // 00000000F050: 0A2E2FB1
	v_mul_f32_e32 v24, v177, v24                               // 00000000F054: 0A3031B1
	v_mul_f32_e32 v25, v177, v25                               // 00000000F058: 0A3233B1
	v_mul_f32_e32 v26, v177, v26                               // 00000000F05C: 0A3435B1
	v_mul_f32_e32 v27, v177, v27                               // 00000000F060: 0A3637B1
	v_mul_f32_e32 v28, v177, v28                               // 00000000F064: 0A3839B1
	v_mul_f32_e32 v29, v177, v29                               // 00000000F068: 0A3A3BB1
	v_mul_f32_e32 v30, v177, v30                               // 00000000F06C: 0A3C3DB1
	v_mul_f32_e32 v31, v177, v31                               // 00000000F070: 0A3E3FB1
	v_mul_f32_e32 v32, v177, v32                               // 00000000F074: 0A4041B1
	v_mul_f32_e32 v33, v177, v33                               // 00000000F078: 0A4243B1
	v_mul_f32_e32 v34, v177, v34                               // 00000000F07C: 0A4445B1
	v_mul_f32_e32 v35, v177, v35                               // 00000000F080: 0A4647B1
	v_mul_f32_e32 v36, v178, v36                               // 00000000F084: 0A4849B2
	v_mul_f32_e32 v37, v178, v37                               // 00000000F088: 0A4A4BB2
	v_mul_f32_e32 v38, v178, v38                               // 00000000F08C: 0A4C4DB2
	v_mul_f32_e32 v39, v178, v39                               // 00000000F090: 0A4E4FB2
	v_mul_f32_e32 v40, v178, v40                               // 00000000F094: 0A5051B2
	v_mul_f32_e32 v41, v178, v41                               // 00000000F098: 0A5253B2
	v_mul_f32_e32 v42, v178, v42                               // 00000000F09C: 0A5455B2
	v_mul_f32_e32 v43, v178, v43                               // 00000000F0A0: 0A5657B2
	v_mul_f32_e32 v44, v178, v44                               // 00000000F0A4: 0A5859B2
	v_mul_f32_e32 v45, v178, v45                               // 00000000F0A8: 0A5A5BB2
	v_mul_f32_e32 v46, v178, v46                               // 00000000F0AC: 0A5C5DB2
	v_mul_f32_e32 v47, v178, v47                               // 00000000F0B0: 0A5E5FB2
	v_mul_f32_e32 v48, v178, v48                               // 00000000F0B4: 0A6061B2
	v_mul_f32_e32 v49, v178, v49                               // 00000000F0B8: 0A6263B2
	v_mul_f32_e32 v50, v178, v50                               // 00000000F0BC: 0A6465B2
	v_mul_f32_e32 v51, v178, v51                               // 00000000F0C0: 0A6667B2
	v_mul_f32_e32 v52, v179, v52                               // 00000000F0C4: 0A6869B3
	v_mul_f32_e32 v53, v179, v53                               // 00000000F0C8: 0A6A6BB3
	v_mul_f32_e32 v54, v179, v54                               // 00000000F0CC: 0A6C6DB3
	v_mul_f32_e32 v55, v179, v55                               // 00000000F0D0: 0A6E6FB3
	v_mul_f32_e32 v56, v179, v56                               // 00000000F0D4: 0A7071B3
	v_mul_f32_e32 v57, v179, v57                               // 00000000F0D8: 0A7273B3
	v_mul_f32_e32 v58, v179, v58                               // 00000000F0DC: 0A7475B3
	v_mul_f32_e32 v59, v179, v59                               // 00000000F0E0: 0A7677B3
	v_mul_f32_e32 v60, v179, v60                               // 00000000F0E4: 0A7879B3
	v_mul_f32_e32 v61, v179, v61                               // 00000000F0E8: 0A7A7BB3
	v_mul_f32_e32 v62, v179, v62                               // 00000000F0EC: 0A7C7DB3
	v_mul_f32_e32 v63, v179, v63                               // 00000000F0F0: 0A7E7FB3
	v_mul_f32_e32 v64, v179, v64                               // 00000000F0F4: 0A8081B3
	v_mul_f32_e32 v65, v179, v65                               // 00000000F0F8: 0A8283B3
	v_mul_f32_e32 v66, v179, v66                               // 00000000F0FC: 0A8485B3
	v_mul_f32_e32 v67, v179, v67                               // 00000000F100: 0A8687B3
	v_cvt_pk_fp8_f32 v4, v4, v5                                // 00000000F104: D2A20004 00020B04
	v_cvt_pk_fp8_f32 v4, v6, v7 op_sel:[0,0,1]                 // 00000000F10C: D2A24004 00020F06
	v_cvt_pk_fp8_f32 v5, v8, v9                                // 00000000F114: D2A20005 00021308
	v_cvt_pk_fp8_f32 v5, v10, v11 op_sel:[0,0,1]               // 00000000F11C: D2A24005 0002170A
	v_cvt_pk_fp8_f32 v6, v12, v13                              // 00000000F124: D2A20006 00021B0C
	v_cvt_pk_fp8_f32 v6, v14, v15 op_sel:[0,0,1]               // 00000000F12C: D2A24006 00021F0E
	v_cvt_pk_fp8_f32 v7, v16, v17                              // 00000000F134: D2A20007 00022310
	v_cvt_pk_fp8_f32 v7, v18, v19 op_sel:[0,0,1]               // 00000000F13C: D2A24007 00022712
	v_cvt_pk_fp8_f32 v8, v20, v21                              // 00000000F144: D2A20008 00022B14
	v_cvt_pk_fp8_f32 v8, v22, v23 op_sel:[0,0,1]               // 00000000F14C: D2A24008 00022F16
	v_cvt_pk_fp8_f32 v9, v24, v25                              // 00000000F154: D2A20009 00023318
	v_cvt_pk_fp8_f32 v9, v26, v27 op_sel:[0,0,1]               // 00000000F15C: D2A24009 0002371A
	v_cvt_pk_fp8_f32 v10, v28, v29                             // 00000000F164: D2A2000A 00023B1C
	v_cvt_pk_fp8_f32 v10, v30, v31 op_sel:[0,0,1]              // 00000000F16C: D2A2400A 00023F1E
	v_cvt_pk_fp8_f32 v11, v32, v33                             // 00000000F174: D2A2000B 00024320
	v_cvt_pk_fp8_f32 v11, v34, v35 op_sel:[0,0,1]              // 00000000F17C: D2A2400B 00024722
	v_cvt_pk_fp8_f32 v12, v36, v37                             // 00000000F184: D2A2000C 00024B24
	v_cvt_pk_fp8_f32 v12, v38, v39 op_sel:[0,0,1]              // 00000000F18C: D2A2400C 00024F26
	v_cvt_pk_fp8_f32 v13, v40, v41                             // 00000000F194: D2A2000D 00025328
	v_cvt_pk_fp8_f32 v13, v42, v43 op_sel:[0,0,1]              // 00000000F19C: D2A2400D 0002572A
	v_cvt_pk_fp8_f32 v14, v44, v45                             // 00000000F1A4: D2A2000E 00025B2C
	v_cvt_pk_fp8_f32 v14, v46, v47 op_sel:[0,0,1]              // 00000000F1AC: D2A2400E 00025F2E
	v_cvt_pk_fp8_f32 v15, v48, v49                             // 00000000F1B4: D2A2000F 00026330
	v_cvt_pk_fp8_f32 v15, v50, v51 op_sel:[0,0,1]              // 00000000F1BC: D2A2400F 00026732
	v_cvt_pk_fp8_f32 v16, v52, v53                             // 00000000F1C4: D2A20010 00026B34
	v_cvt_pk_fp8_f32 v16, v54, v55 op_sel:[0,0,1]              // 00000000F1CC: D2A24010 00026F36
	v_cvt_pk_fp8_f32 v17, v56, v57                             // 00000000F1D4: D2A20011 00027338
	v_cvt_pk_fp8_f32 v17, v58, v59 op_sel:[0,0,1]              // 00000000F1DC: D2A24011 0002773A
	v_cvt_pk_fp8_f32 v18, v60, v61                             // 00000000F1E4: D2A20012 00027B3C
	v_cvt_pk_fp8_f32 v18, v62, v63 op_sel:[0,0,1]              // 00000000F1EC: D2A24012 00027F3E
	v_cvt_pk_fp8_f32 v19, v64, v65                             // 00000000F1F4: D2A20013 00028340
	v_cvt_pk_fp8_f32 v19, v66, v67 op_sel:[0,0,1]              // 00000000F1FC: D2A24013 00028742
	ds_write_b32 v249, v4 offset:8192                          // 00000000F204: D81A2000 000004F9
	ds_write_b32 v249, v5 offset:9216                          // 00000000F20C: D81A2400 000005F9
	ds_write_b32 v249, v6 offset:10240                         // 00000000F214: D81A2800 000006F9
	ds_write_b32 v249, v7 offset:11264                         // 00000000F21C: D81A2C00 000007F9
	ds_write_b32 v249, v8 offset:12288                         // 00000000F224: D81A3000 000008F9
	ds_write_b32 v249, v9 offset:13312                         // 00000000F22C: D81A3400 000009F9
	ds_write_b32 v249, v10 offset:14336                        // 00000000F234: D81A3800 00000AF9
	ds_write_b32 v249, v11 offset:15360                        // 00000000F23C: D81A3C00 00000BF9
	ds_write_b32 v249, v12 offset:16384                        // 00000000F244: D81A4000 00000CF9
	ds_write_b32 v249, v13 offset:17408                        // 00000000F24C: D81A4400 00000DF9
	ds_write_b32 v249, v14 offset:18432                        // 00000000F254: D81A4800 00000EF9
	ds_write_b32 v249, v15 offset:19456                        // 00000000F25C: D81A4C00 00000FF9
	ds_write_b32 v249, v16 offset:20480                        // 00000000F264: D81A5000 000010F9
	ds_write_b32 v249, v17 offset:21504                        // 00000000F26C: D81A5400 000011F9
	ds_write_b32 v249, v18 offset:22528                        // 00000000F274: D81A5800 000012F9
	ds_write_b32 v249, v19 offset:23552                        // 00000000F27C: D81A5C00 000013F9
	v_rcp_f32_e32 v144, v176                                   // 00000000F284: 7F2045B0
	v_rcp_f32_e32 v146, v177                                   // 00000000F288: 7F2445B1
	v_rcp_f32_e32 v148, v178                                   // 00000000F28C: 7F2845B2
	v_rcp_f32_e32 v150, v179                                   // 00000000F290: 7F2C45B3
	v_mov_b32_e32 v145, v144                                   // 00000000F294: 7F220390
	v_mov_b32_e32 v147, v146                                   // 00000000F298: 7F260392
	v_mov_b32_e32 v149, v148                                   // 00000000F29C: 7F2A0394
	v_mov_b32_e32 v151, v150                                   // 00000000F2A0: 7F2E0396
	v_pk_add_f32 v[100:101], v[100:101], v[68:69]              // 00000000F2A4: D3B24064 18028964
	v_pk_add_f32 v[102:103], v[102:103], v[70:71]              // 00000000F2AC: D3B24066 18028D66
	v_pk_add_f32 v[104:105], v[104:105], v[72:73]              // 00000000F2B4: D3B24068 18029168
	v_pk_add_f32 v[106:107], v[106:107], v[74:75]              // 00000000F2BC: D3B2406A 1802956A
	v_pk_add_f32 v[108:109], v[108:109], v[76:77]              // 00000000F2C4: D3B2406C 1802996C
	v_pk_add_f32 v[110:111], v[110:111], v[78:79]              // 00000000F2CC: D3B2406E 18029D6E
	v_pk_add_f32 v[112:113], v[112:113], v[80:81]              // 00000000F2D4: D3B24070 1802A170
	v_pk_add_f32 v[114:115], v[114:115], v[82:83]              // 00000000F2DC: D3B24072 1802A572
	v_pk_add_f32 v[116:117], v[116:117], v[84:85]              // 00000000F2E4: D3B24074 1802A974
	v_pk_add_f32 v[118:119], v[118:119], v[86:87]              // 00000000F2EC: D3B24076 1802AD76
	v_pk_add_f32 v[120:121], v[120:121], v[88:89]              // 00000000F2F4: D3B24078 1802B178
	v_pk_add_f32 v[122:123], v[122:123], v[90:91]              // 00000000F2FC: D3B2407A 1802B57A
	v_pk_add_f32 v[124:125], v[124:125], v[92:93]              // 00000000F304: D3B2407C 1802B97C
	v_pk_add_f32 v[126:127], v[126:127], v[94:95]              // 00000000F30C: D3B2407E 1802BD7E
	v_pk_add_f32 v[128:129], v[128:129], v[96:97]              // 00000000F314: D3B24080 1802C180
	v_pk_add_f32 v[130:131], v[130:131], v[98:99]              // 00000000F31C: D3B24082 1802C582
	s_waitcnt lgkmcnt(0)                                       // 00000000F324: BF8CC07F
	s_barrier                                                  // 00000000F328: BF8A0000
	ds_read_b128 v[4:7], v250 offset:8192                      // 00000000F32C: D9FE2000 040000FA
	ds_read_b128 v[8:11], v250 offset:9216                     // 00000000F334: D9FE2400 080000FA
	ds_read_b128 v[12:15], v250 offset:10240                   // 00000000F33C: D9FE2800 0C0000FA
	ds_read_b128 v[16:19], v250 offset:11264                   // 00000000F344: D9FE2C00 100000FA
	ds_read_b128 v[20:23], v250 offset:12288                   // 00000000F34C: D9FE3000 140000FA
	ds_read_b128 v[24:27], v250 offset:13312                   // 00000000F354: D9FE3400 180000FA
	ds_read_b128 v[28:31], v250 offset:14336                   // 00000000F35C: D9FE3800 1C0000FA
	ds_read_b128 v[32:35], v250 offset:15360                   // 00000000F364: D9FE3C00 200000FA
	ds_read_b128 v[36:39], v250 offset:16384                   // 00000000F36C: D9FE4000 240000FA
	ds_read_b128 v[40:43], v250 offset:17408                   // 00000000F374: D9FE4400 280000FA
	ds_read_b128 v[44:47], v250 offset:18432                   // 00000000F37C: D9FE4800 2C0000FA
	ds_read_b128 v[48:51], v250 offset:19456                   // 00000000F384: D9FE4C00 300000FA
	ds_read_b128 v[52:55], v250 offset:20480                   // 00000000F38C: D9FE5000 340000FA
	ds_read_b128 v[56:59], v250 offset:21504                   // 00000000F394: D9FE5400 380000FA
	ds_read_b128 v[60:63], v250 offset:22528                   // 00000000F39C: D9FE5800 3C0000FA
	ds_read_b128 v[64:67], v250 offset:23552                   // 00000000F3A4: D9FE5C00 400000FA
	s_waitcnt vmcnt(10)                                        // 00000000F3AC: BF8C0F7A
	s_waitcnt vmcnt(63) expcnt(7) lgkmcnt(15)                  // 00000000F3B0: BF8CCF7F
	v_mfma_f32_16x16x32_fp8_fp8 v[68:71], a[128:129], v[4:5], 0// 00000000F3B4: D3F30044 0A020980
	v_mfma_f32_16x16x32_fp8_fp8 v[72:75], a[144:145], v[4:5], 0// 00000000F3BC: D3F30048 0A020990
	v_mfma_f32_16x16x32_fp8_fp8 v[68:71], a[130:131], v[6:7], v[68:71]// 00000000F3C4: D3F30044 0D120D82
	buffer_load_dwordx4 a[96:99], v227, s[16:19], 0 offen      // 00000000F3CC: E05C1000 808460E3
	v_mfma_f32_16x16x32_fp8_fp8 v[72:75], a[146:147], v[6:7], v[72:75]// 00000000F3D4: D3F30048 0D220D92
	s_waitcnt lgkmcnt(14)                                      // 00000000F3DC: BF8CCE7F
	v_mfma_f32_16x16x32_fp8_fp8 v[68:71], a[132:133], v[8:9], v[68:71]// 00000000F3E0: D3F30044 0D121184
	v_mfma_f32_16x16x32_fp8_fp8 v[72:75], a[148:149], v[8:9], v[72:75]// 00000000F3E8: D3F30048 0D221194
	v_mfma_f32_16x16x32_fp8_fp8 v[68:71], a[134:135], v[10:11], v[68:71]// 00000000F3F0: D3F30044 0D121586
	buffer_load_dwordx4 a[100:103], v228, s[16:19], 0 offen    // 00000000F3F8: E05C1000 808464E4
	v_mfma_f32_16x16x32_fp8_fp8 v[72:75], a[150:151], v[10:11], v[72:75]// 00000000F400: D3F30048 0D221596
	s_waitcnt lgkmcnt(13)                                      // 00000000F408: BF8CCD7F
	v_mfma_f32_16x16x32_fp8_fp8 v[68:71], a[136:137], v[12:13], v[68:71]// 00000000F40C: D3F30044 0D121988
	v_mfma_f32_16x16x32_fp8_fp8 v[72:75], a[152:153], v[12:13], v[72:75]// 00000000F414: D3F30048 0D221998
	v_mfma_f32_16x16x32_fp8_fp8 v[68:71], a[138:139], v[14:15], v[68:71]// 00000000F41C: D3F30044 0D121D8A
	buffer_load_dwordx4 a[104:107], v229, s[16:19], 0 offen    // 00000000F424: E05C1000 808468E5
	v_mfma_f32_16x16x32_fp8_fp8 v[72:75], a[154:155], v[14:15], v[72:75]// 00000000F42C: D3F30048 0D221D9A
	s_waitcnt lgkmcnt(12)                                      // 00000000F434: BF8CCC7F
	v_mfma_f32_16x16x32_fp8_fp8 v[68:71], a[140:141], v[16:17], v[68:71]// 00000000F438: D3F30044 0D12218C
	v_mfma_f32_16x16x32_fp8_fp8 v[72:75], a[156:157], v[16:17], v[72:75]// 00000000F440: D3F30048 0D22219C
	v_mfma_f32_16x16x32_fp8_fp8 v[68:71], a[142:143], v[18:19], v[68:71]// 00000000F448: D3F30044 0D12258E
	buffer_load_dwordx4 a[108:111], v230, s[16:19], 0 offen    // 00000000F450: E05C1000 80846CE6
	v_mfma_f32_16x16x32_fp8_fp8 v[72:75], a[158:159], v[18:19], v[72:75]// 00000000F458: D3F30048 0D22259E
	s_waitcnt lgkmcnt(11)                                      // 00000000F460: BF8CCB7F
	v_mfma_f32_16x16x32_fp8_fp8 v[76:79], a[128:129], v[20:21], 0// 00000000F464: D3F3004C 0A022980
	v_mfma_f32_16x16x32_fp8_fp8 v[80:83], a[144:145], v[20:21], 0// 00000000F46C: D3F30050 0A022990
	v_mfma_f32_16x16x32_fp8_fp8 v[76:79], a[130:131], v[22:23], v[76:79]// 00000000F474: D3F3004C 0D322D82
	buffer_load_dwordx4 a[112:115], v227, s[16:19], 0 offen offset:1024// 00000000F47C: E05C1400 808470E3
	v_mfma_f32_16x16x32_fp8_fp8 v[80:83], a[146:147], v[22:23], v[80:83]// 00000000F484: D3F30050 0D422D92
	s_waitcnt lgkmcnt(10)                                      // 00000000F48C: BF8CCA7F
	v_mfma_f32_16x16x32_fp8_fp8 v[76:79], a[132:133], v[24:25], v[76:79]// 00000000F490: D3F3004C 0D323184
	v_mfma_f32_16x16x32_fp8_fp8 v[80:83], a[148:149], v[24:25], v[80:83]// 00000000F498: D3F30050 0D423194
	v_mfma_f32_16x16x32_fp8_fp8 v[76:79], a[134:135], v[26:27], v[76:79]// 00000000F4A0: D3F3004C 0D323586
	buffer_load_dwordx4 a[116:119], v228, s[16:19], 0 offen offset:1024// 00000000F4A8: E05C1400 808474E4
	v_mfma_f32_16x16x32_fp8_fp8 v[80:83], a[150:151], v[26:27], v[80:83]// 00000000F4B0: D3F30050 0D423596
	s_waitcnt lgkmcnt(9)                                       // 00000000F4B8: BF8CC97F
	v_mfma_f32_16x16x32_fp8_fp8 v[76:79], a[136:137], v[28:29], v[76:79]// 00000000F4BC: D3F3004C 0D323988
	v_mfma_f32_16x16x32_fp8_fp8 v[80:83], a[152:153], v[28:29], v[80:83]// 00000000F4C4: D3F30050 0D423998
	v_mfma_f32_16x16x32_fp8_fp8 v[76:79], a[138:139], v[30:31], v[76:79]// 00000000F4CC: D3F3004C 0D323D8A
	buffer_load_dwordx4 a[120:123], v229, s[16:19], 0 offen offset:1024// 00000000F4D4: E05C1400 808478E5
	v_mfma_f32_16x16x32_fp8_fp8 v[80:83], a[154:155], v[30:31], v[80:83]// 00000000F4DC: D3F30050 0D423D9A
	s_waitcnt lgkmcnt(8)                                       // 00000000F4E4: BF8CC87F
	v_mfma_f32_16x16x32_fp8_fp8 v[76:79], a[140:141], v[32:33], v[76:79]// 00000000F4E8: D3F3004C 0D32418C
	v_mfma_f32_16x16x32_fp8_fp8 v[80:83], a[156:157], v[32:33], v[80:83]// 00000000F4F0: D3F30050 0D42419C
	v_mfma_f32_16x16x32_fp8_fp8 v[76:79], a[142:143], v[34:35], v[76:79]// 00000000F4F8: D3F3004C 0D32458E
	buffer_load_dwordx4 a[124:127], v230, s[16:19], 0 offen offset:1024// 00000000F500: E05C1400 80847CE6
	v_mfma_f32_16x16x32_fp8_fp8 v[80:83], a[158:159], v[34:35], v[80:83]// 00000000F508: D3F30050 0D42459E
	s_waitcnt lgkmcnt(7)                                       // 00000000F510: BF8CC77F
	v_mfma_f32_16x16x32_fp8_fp8 v[84:87], a[128:129], v[36:37], 0// 00000000F514: D3F30054 0A024980
	v_mfma_f32_16x16x32_fp8_fp8 v[88:91], a[144:145], v[36:37], 0// 00000000F51C: D3F30058 0A024990
	v_mfma_f32_16x16x32_fp8_fp8 v[84:87], a[130:131], v[38:39], v[84:87]// 00000000F524: D3F30054 0D524D82
	v_mfma_f32_16x16x32_fp8_fp8 v[88:91], a[146:147], v[38:39], v[88:91]// 00000000F52C: D3F30058 0D624D92
	s_waitcnt lgkmcnt(6)                                       // 00000000F534: BF8CC67F
	v_mfma_f32_16x16x32_fp8_fp8 v[84:87], a[132:133], v[40:41], v[84:87]// 00000000F538: D3F30054 0D525184
	v_mfma_f32_16x16x32_fp8_fp8 v[88:91], a[148:149], v[40:41], v[88:91]// 00000000F540: D3F30058 0D625194
	v_mfma_f32_16x16x32_fp8_fp8 v[84:87], a[134:135], v[42:43], v[84:87]// 00000000F548: D3F30054 0D525586
	v_mfma_f32_16x16x32_fp8_fp8 v[88:91], a[150:151], v[42:43], v[88:91]// 00000000F550: D3F30058 0D625596
	s_waitcnt lgkmcnt(5)                                       // 00000000F558: BF8CC57F
	v_mfma_f32_16x16x32_fp8_fp8 v[84:87], a[136:137], v[44:45], v[84:87]// 00000000F55C: D3F30054 0D525988
	v_mfma_f32_16x16x32_fp8_fp8 v[88:91], a[152:153], v[44:45], v[88:91]// 00000000F564: D3F30058 0D625998
	v_mfma_f32_16x16x32_fp8_fp8 v[84:87], a[138:139], v[46:47], v[84:87]// 00000000F56C: D3F30054 0D525D8A
	v_mfma_f32_16x16x32_fp8_fp8 v[88:91], a[154:155], v[46:47], v[88:91]// 00000000F574: D3F30058 0D625D9A
	s_waitcnt lgkmcnt(4)                                       // 00000000F57C: BF8CC47F
	v_mfma_f32_16x16x32_fp8_fp8 v[84:87], a[140:141], v[48:49], v[84:87]// 00000000F580: D3F30054 0D52618C
	v_mfma_f32_16x16x32_fp8_fp8 v[88:91], a[156:157], v[48:49], v[88:91]// 00000000F588: D3F30058 0D62619C
	v_mfma_f32_16x16x32_fp8_fp8 v[84:87], a[142:143], v[50:51], v[84:87]// 00000000F590: D3F30054 0D52658E
	v_mfma_f32_16x16x32_fp8_fp8 v[88:91], a[158:159], v[50:51], v[88:91]// 00000000F598: D3F30058 0D62659E
	s_waitcnt lgkmcnt(3)                                       // 00000000F5A0: BF8CC37F
	v_mfma_f32_16x16x32_fp8_fp8 v[92:95], a[128:129], v[52:53], 0// 00000000F5A4: D3F3005C 0A026980
	v_mfma_f32_16x16x32_fp8_fp8 v[96:99], a[144:145], v[52:53], 0// 00000000F5AC: D3F30060 0A026990
	v_mfma_f32_16x16x32_fp8_fp8 v[92:95], a[130:131], v[54:55], v[92:95]// 00000000F5B4: D3F3005C 0D726D82
	v_mfma_f32_16x16x32_fp8_fp8 v[96:99], a[146:147], v[54:55], v[96:99]// 00000000F5BC: D3F30060 0D826D92
	s_waitcnt lgkmcnt(2)                                       // 00000000F5C4: BF8CC27F
	v_mfma_f32_16x16x32_fp8_fp8 v[92:95], a[132:133], v[56:57], v[92:95]// 00000000F5C8: D3F3005C 0D727184
	v_mfma_f32_16x16x32_fp8_fp8 v[96:99], a[148:149], v[56:57], v[96:99]// 00000000F5D0: D3F30060 0D827194
	v_mfma_f32_16x16x32_fp8_fp8 v[92:95], a[134:135], v[58:59], v[92:95]// 00000000F5D8: D3F3005C 0D727586
	v_mfma_f32_16x16x32_fp8_fp8 v[96:99], a[150:151], v[58:59], v[96:99]// 00000000F5E0: D3F30060 0D827596
	s_waitcnt lgkmcnt(1)                                       // 00000000F5E8: BF8CC17F
	v_mfma_f32_16x16x32_fp8_fp8 v[92:95], a[136:137], v[60:61], v[92:95]// 00000000F5EC: D3F3005C 0D727988
	v_mfma_f32_16x16x32_fp8_fp8 v[96:99], a[152:153], v[60:61], v[96:99]// 00000000F5F4: D3F30060 0D827998
	v_mfma_f32_16x16x32_fp8_fp8 v[92:95], a[138:139], v[62:63], v[92:95]// 00000000F5FC: D3F3005C 0D727D8A
	v_mfma_f32_16x16x32_fp8_fp8 v[96:99], a[154:155], v[62:63], v[96:99]// 00000000F604: D3F30060 0D827D9A
	s_waitcnt lgkmcnt(0)                                       // 00000000F60C: BF8CC07F
	v_mfma_f32_16x16x32_fp8_fp8 v[92:95], a[140:141], v[64:65], v[92:95]// 00000000F610: D3F3005C 0D72818C
	v_mfma_f32_16x16x32_fp8_fp8 v[96:99], a[156:157], v[64:65], v[96:99]// 00000000F618: D3F30060 0D82819C
	v_mfma_f32_16x16x32_fp8_fp8 v[92:95], a[142:143], v[66:67], v[92:95]// 00000000F620: D3F3005C 0D72858E
	v_mfma_f32_16x16x32_fp8_fp8 v[96:99], a[158:159], v[66:67], v[96:99]// 00000000F628: D3F30060 0D82859E
	s_addk_i32 s64, 0x100                                      // 00000000F630: B7400100
	s_branch label_1C36                                        // 00000000F634: BF82E8A8

000000000000f638 <label_338E>:
	s_cmp_lt_i32 s64, s62                                      // 00000000F638: BF043E40
	s_cbranch_scc0 label_598E                                  // 00000000F63C: BF8425FE
	s_waitcnt vmcnt(10)                                        // 00000000F640: BF8C0F7A
	v_mfma_f32_16x16x32_fp8_fp8 v[4:7], a[32:33], a[0:1], 0    // 00000000F644: D3F30004 1A020120
	s_add_u32 s12, s86, s69                                    // 00000000F64C: 800C4556
	s_addc_u32 s13, s87, 0                                     // 00000000F650: 820D8057
	v_mfma_f32_16x16x32_fp8_fp8 v[4:7], a[34:35], a[2:3], v[4:7]// 00000000F654: D3F30004 1C120522
	s_add_u32 s16, s88, s70                                    // 00000000F65C: 80104658
	s_addc_u32 s17, s89, 0                                     // 00000000F660: 82118059
	v_mfma_f32_16x16x32_fp8_fp8 v[4:7], a[36:37], a[4:5], v[4:7]// 00000000F664: D3F30004 1C120924
	buffer_load_dwordx4 a[64:67], v225, s[12:15], 0 offen      // 00000000F66C: E05C1000 808340E1
	v_mfma_f32_16x16x32_fp8_fp8 v[4:7], a[38:39], a[6:7], v[4:7]// 00000000F674: D3F30004 1C120D26
	s_add_u32 s20, s90, s71                                    // 00000000F67C: 8014475A
	s_addc_u32 s21, s91, 0                                     // 00000000F680: 8215805B
	v_mfma_f32_16x16x32_fp8_fp8 v[8:11], a[40:41], a[0:1], 0   // 00000000F684: D3F30008 1A020128
	s_add_u32 s24, s92, s71                                    // 00000000F68C: 8018475C
	s_addc_u32 s25, s93, 0                                     // 00000000F690: 8219805D
	v_mfma_f32_16x16x32_fp8_fp8 v[8:11], a[42:43], a[2:3], v[8:11]// 00000000F694: D3F30008 1C22052A
	s_add_u32 s69, s69, 0x1000                                 // 00000000F69C: 8045FF45 00001000
	s_add_u32 s70, s70, 0x8000                                 // 00000000F6A4: 8046FF46 00008000
	v_mfma_f32_16x16x32_fp8_fp8 v[8:11], a[44:45], a[4:5], v[8:11]// 00000000F6AC: D3F30008 1C22092C
	buffer_load_dwordx4 a[68:71], v226, s[12:15], 0 offen      // 00000000F6B4: E05C1000 808344E2
	v_mfma_f32_16x16x32_fp8_fp8 v[8:11], a[46:47], a[6:7], v[8:11]// 00000000F6BC: D3F30008 1C220D2E
	s_add_u32 s71, s71, 0x400                                  // 00000000F6C4: 8047FF47 00000400
	v_mfma_f32_16x16x32_fp8_fp8 v[12:15], a[48:49], a[0:1], 0  // 00000000F6CC: D3F3000C 1A020130
	v_mfma_f32_16x16x32_fp8_fp8 v[12:15], a[50:51], a[2:3], v[12:15]// 00000000F6D4: D3F3000C 1C320532
	v_mfma_f32_16x16x32_fp8_fp8 v[12:15], a[52:53], a[4:5], v[12:15]// 00000000F6DC: D3F3000C 1C320934
	buffer_load_dwordx4 a[72:75], v225, s[12:15], 0 offen offset:1024// 00000000F6E4: E05C1400 808348E1
	v_mfma_f32_16x16x32_fp8_fp8 v[12:15], a[54:55], a[6:7], v[12:15]// 00000000F6EC: D3F3000C 1C320D36
	v_mfma_f32_16x16x32_fp8_fp8 v[16:19], a[56:57], a[0:1], 0  // 00000000F6F4: D3F30010 1A020138
	v_mfma_f32_16x16x32_fp8_fp8 v[16:19], a[58:59], a[2:3], v[16:19]// 00000000F6FC: D3F30010 1C42053A
	v_mfma_f32_16x16x32_fp8_fp8 v[16:19], a[60:61], a[4:5], v[16:19]// 00000000F704: D3F30010 1C42093C
	buffer_load_dwordx4 a[76:79], v226, s[12:15], 0 offen offset:1024// 00000000F70C: E05C1400 80834CE2
	v_mfma_f32_16x16x32_fp8_fp8 v[16:19], a[62:63], a[6:7], v[16:19]// 00000000F714: D3F30010 1C420D3E
	v_mfma_f32_16x16x32_fp8_fp8 v[20:23], a[32:33], a[8:9], 0  // 00000000F71C: D3F30014 1A021120
	v_mfma_f32_16x16x32_fp8_fp8 v[20:23], a[34:35], a[10:11], v[20:23]// 00000000F724: D3F30014 1C521522
	v_mfma_f32_16x16x32_fp8_fp8 v[20:23], a[36:37], a[12:13], v[20:23]// 00000000F72C: D3F30014 1C521924
	buffer_load_dwordx4 a[80:83], v225, s[12:15], 0 offen offset:2048// 00000000F734: E05C1800 808350E1
	v_mfma_f32_16x16x32_fp8_fp8 v[20:23], a[38:39], a[14:15], v[20:23]// 00000000F73C: D3F30014 1C521D26
	v_mfma_f32_16x16x32_fp8_fp8 v[24:27], a[40:41], a[8:9], 0  // 00000000F744: D3F30018 1A021128
	v_mfma_f32_16x16x32_fp8_fp8 v[24:27], a[42:43], a[10:11], v[24:27]// 00000000F74C: D3F30018 1C62152A
	v_mfma_f32_16x16x32_fp8_fp8 v[24:27], a[44:45], a[12:13], v[24:27]// 00000000F754: D3F30018 1C62192C
	buffer_load_dwordx4 a[84:87], v226, s[12:15], 0 offen offset:2048// 00000000F75C: E05C1800 808354E2
	v_mfma_f32_16x16x32_fp8_fp8 v[24:27], a[46:47], a[14:15], v[24:27]// 00000000F764: D3F30018 1C621D2E
	v_mfma_f32_16x16x32_fp8_fp8 v[28:31], a[48:49], a[8:9], 0  // 00000000F76C: D3F3001C 1A021130
	v_mfma_f32_16x16x32_fp8_fp8 v[28:31], a[50:51], a[10:11], v[28:31]// 00000000F774: D3F3001C 1C721532
	v_mfma_f32_16x16x32_fp8_fp8 v[28:31], a[52:53], a[12:13], v[28:31]// 00000000F77C: D3F3001C 1C721934
	buffer_load_dwordx4 a[88:91], v225, s[12:15], 0 offen offset:3072// 00000000F784: E05C1C00 808358E1
	v_mfma_f32_16x16x32_fp8_fp8 v[28:31], a[54:55], a[14:15], v[28:31]// 00000000F78C: D3F3001C 1C721D36
	v_mfma_f32_16x16x32_fp8_fp8 v[32:35], a[56:57], a[8:9], 0  // 00000000F794: D3F30020 1A021138
	v_mfma_f32_16x16x32_fp8_fp8 v[32:35], a[58:59], a[10:11], v[32:35]// 00000000F79C: D3F30020 1C82153A
	v_mfma_f32_16x16x32_fp8_fp8 v[32:35], a[60:61], a[12:13], v[32:35]// 00000000F7A4: D3F30020 1C82193C
	buffer_load_dwordx4 a[92:95], v226, s[12:15], 0 offen offset:3072// 00000000F7AC: E05C1C00 80835CE2
	v_mfma_f32_16x16x32_fp8_fp8 v[32:35], a[62:63], a[14:15], v[32:35]// 00000000F7B4: D3F30020 1C821D3E
	v_mfma_f32_16x16x32_fp8_fp8 v[36:39], a[32:33], a[16:17], 0// 00000000F7BC: D3F30024 1A022120
	v_mfma_f32_16x16x32_fp8_fp8 v[36:39], a[34:35], a[18:19], v[36:39]// 00000000F7C4: D3F30024 1C922522
	v_mfma_f32_16x16x32_fp8_fp8 v[36:39], a[36:37], a[20:21], v[36:39]// 00000000F7CC: D3F30024 1C922924
	v_mfma_f32_16x16x32_fp8_fp8 v[36:39], a[38:39], a[22:23], v[36:39]// 00000000F7D4: D3F30024 1C922D26
	v_mfma_f32_16x16x32_fp8_fp8 v[40:43], a[40:41], a[16:17], 0// 00000000F7DC: D3F30028 1A022128
	v_mfma_f32_16x16x32_fp8_fp8 v[40:43], a[42:43], a[18:19], v[40:43]// 00000000F7E4: D3F30028 1CA2252A
	v_mfma_f32_16x16x32_fp8_fp8 v[40:43], a[44:45], a[20:21], v[40:43]// 00000000F7EC: D3F30028 1CA2292C
	v_mfma_f32_16x16x32_fp8_fp8 v[40:43], a[46:47], a[22:23], v[40:43]// 00000000F7F4: D3F30028 1CA22D2E
	v_mfma_f32_16x16x32_fp8_fp8 v[44:47], a[48:49], a[16:17], 0// 00000000F7FC: D3F3002C 1A022130
	v_mfma_f32_16x16x32_fp8_fp8 v[44:47], a[50:51], a[18:19], v[44:47]// 00000000F804: D3F3002C 1CB22532
	v_mfma_f32_16x16x32_fp8_fp8 v[44:47], a[52:53], a[20:21], v[44:47]// 00000000F80C: D3F3002C 1CB22934
	v_mfma_f32_16x16x32_fp8_fp8 v[44:47], a[54:55], a[22:23], v[44:47]// 00000000F814: D3F3002C 1CB22D36
	v_mfma_f32_16x16x32_fp8_fp8 v[48:51], a[56:57], a[16:17], 0// 00000000F81C: D3F30030 1A022138
	v_mfma_f32_16x16x32_fp8_fp8 v[48:51], a[58:59], a[18:19], v[48:51]// 00000000F824: D3F30030 1CC2253A
	v_mfma_f32_16x16x32_fp8_fp8 v[48:51], a[60:61], a[20:21], v[48:51]// 00000000F82C: D3F30030 1CC2293C
	v_mfma_f32_16x16x32_fp8_fp8 v[48:51], a[62:63], a[22:23], v[48:51]// 00000000F834: D3F30030 1CC22D3E
	v_mfma_f32_16x16x32_fp8_fp8 v[52:55], a[32:33], a[24:25], 0// 00000000F83C: D3F30034 1A023120
	v_mfma_f32_16x16x32_fp8_fp8 v[52:55], a[34:35], a[26:27], v[52:55]// 00000000F844: D3F30034 1CD23522
	v_mfma_f32_16x16x32_fp8_fp8 v[52:55], a[36:37], a[28:29], v[52:55]// 00000000F84C: D3F30034 1CD23924
	v_mfma_f32_16x16x32_fp8_fp8 v[52:55], a[38:39], a[30:31], v[52:55]// 00000000F854: D3F30034 1CD23D26
	v_mfma_f32_16x16x32_fp8_fp8 v[56:59], a[40:41], a[24:25], 0// 00000000F85C: D3F30038 1A023128
	v_mfma_f32_16x16x32_fp8_fp8 v[56:59], a[42:43], a[26:27], v[56:59]// 00000000F864: D3F30038 1CE2352A
	v_mfma_f32_16x16x32_fp8_fp8 v[56:59], a[44:45], a[28:29], v[56:59]// 00000000F86C: D3F30038 1CE2392C
	v_mfma_f32_16x16x32_fp8_fp8 v[56:59], a[46:47], a[30:31], v[56:59]// 00000000F874: D3F30038 1CE23D2E
	v_mfma_f32_16x16x32_fp8_fp8 v[60:63], a[48:49], a[24:25], 0// 00000000F87C: D3F3003C 1A023130
	v_mfma_f32_16x16x32_fp8_fp8 v[60:63], a[50:51], a[26:27], v[60:63]// 00000000F884: D3F3003C 1CF23532
	v_mfma_f32_16x16x32_fp8_fp8 v[60:63], a[52:53], a[28:29], v[60:63]// 00000000F88C: D3F3003C 1CF23934
	v_mfma_f32_16x16x32_fp8_fp8 v[60:63], a[54:55], a[30:31], v[60:63]// 00000000F894: D3F3003C 1CF23D36
	v_mfma_f32_16x16x32_fp8_fp8 v[64:67], a[56:57], a[24:25], 0// 00000000F89C: D3F30040 1A023138
	v_mfma_f32_16x16x32_fp8_fp8 v[64:67], a[58:59], a[26:27], v[64:67]// 00000000F8A4: D3F30040 1D02353A
	v_mfma_f32_16x16x32_fp8_fp8 v[64:67], a[60:61], a[28:29], v[64:67]// 00000000F8AC: D3F30040 1D02393C
	v_mfma_f32_16x16x32_fp8_fp8 v[64:67], a[62:63], a[30:31], v[64:67]// 00000000F8B4: D3F30040 1D023D3E
	s_waitcnt vmcnt(16)                                        // 00000000F8BC: BF8C4F70
	v_pk_mul_f32 v[4:5], v[132:133], v[4:5]                    // 00000000F8C0: D3B14004 18020984
	v_pk_mul_f32 v[6:7], v[132:133], v[6:7]                    // 00000000F8C8: D3B14006 18020D84
	v_mul_f32_dpp v4, v140, v4 row_newbcast:0 row_mask:0xf bank_mask:0xf// 00000000F8D0: 0A0808FA FF01508C
	v_mul_f32_dpp v5, v140, v5 row_newbcast:1 row_mask:0xf bank_mask:0xf// 00000000F8D8: 0A0A0AFA FF01518C
	v_mul_f32_dpp v6, v140, v6 row_newbcast:2 row_mask:0xf bank_mask:0xf// 00000000F8E0: 0A0C0CFA FF01528C
	v_mul_f32_dpp v7, v140, v7 row_newbcast:3 row_mask:0xf bank_mask:0xf// 00000000F8E8: 0A0E0EFA FF01538C
	v_pk_mul_f32 v[8:9], v[132:133], v[8:9]                    // 00000000F8F0: D3B14008 18021184
	v_pk_mul_f32 v[10:11], v[132:133], v[10:11]                // 00000000F8F8: D3B1400A 18021584
	v_mul_f32_dpp v8, v140, v8 row_newbcast:4 row_mask:0xf bank_mask:0xf// 00000000F900: 0A1010FA FF01548C
	v_mul_f32_dpp v9, v140, v9 row_newbcast:5 row_mask:0xf bank_mask:0xf// 00000000F908: 0A1212FA FF01558C
	v_mul_f32_dpp v10, v140, v10 row_newbcast:6 row_mask:0xf bank_mask:0xf// 00000000F910: 0A1414FA FF01568C
	v_mul_f32_dpp v11, v140, v11 row_newbcast:7 row_mask:0xf bank_mask:0xf// 00000000F918: 0A1616FA FF01578C
	v_pk_mul_f32 v[12:13], v[132:133], v[12:13]                // 00000000F920: D3B1400C 18021984
	v_pk_mul_f32 v[14:15], v[132:133], v[14:15]                // 00000000F928: D3B1400E 18021D84
	v_mul_f32_dpp v12, v140, v12 row_newbcast:8 row_mask:0xf bank_mask:0xf// 00000000F930: 0A1818FA FF01588C
	v_mul_f32_dpp v13, v140, v13 row_newbcast:9 row_mask:0xf bank_mask:0xf// 00000000F938: 0A1A1AFA FF01598C
	v_mul_f32_dpp v14, v140, v14 row_newbcast:10 row_mask:0xf bank_mask:0xf// 00000000F940: 0A1C1CFA FF015A8C
	v_mul_f32_dpp v15, v140, v15 row_newbcast:11 row_mask:0xf bank_mask:0xf// 00000000F948: 0A1E1EFA FF015B8C
	v_pk_mul_f32 v[16:17], v[132:133], v[16:17]                // 00000000F950: D3B14010 18022184
	v_pk_mul_f32 v[18:19], v[132:133], v[18:19]                // 00000000F958: D3B14012 18022584
	v_mul_f32_dpp v16, v140, v16 row_newbcast:12 row_mask:0xf bank_mask:0xf// 00000000F960: 0A2020FA FF015C8C
	v_mul_f32_dpp v17, v140, v17 row_newbcast:13 row_mask:0xf bank_mask:0xf// 00000000F968: 0A2222FA FF015D8C
	v_mul_f32_dpp v18, v140, v18 row_newbcast:14 row_mask:0xf bank_mask:0xf// 00000000F970: 0A2424FA FF015E8C
	v_mul_f32_dpp v19, v140, v19 row_newbcast:15 row_mask:0xf bank_mask:0xf// 00000000F978: 0A2626FA FF015F8C
	v_pk_mul_f32 v[20:21], v[134:135], v[20:21]                // 00000000F980: D3B14014 18022986
	v_pk_mul_f32 v[22:23], v[134:135], v[22:23]                // 00000000F988: D3B14016 18022D86
	v_mul_f32_dpp v20, v140, v20 row_newbcast:0 row_mask:0xf bank_mask:0xf// 00000000F990: 0A2828FA FF01508C
	v_mul_f32_dpp v21, v140, v21 row_newbcast:1 row_mask:0xf bank_mask:0xf// 00000000F998: 0A2A2AFA FF01518C
	v_mul_f32_dpp v22, v140, v22 row_newbcast:2 row_mask:0xf bank_mask:0xf// 00000000F9A0: 0A2C2CFA FF01528C
	v_mul_f32_dpp v23, v140, v23 row_newbcast:3 row_mask:0xf bank_mask:0xf// 00000000F9A8: 0A2E2EFA FF01538C
	v_pk_mul_f32 v[24:25], v[134:135], v[24:25]                // 00000000F9B0: D3B14018 18023186
	v_pk_mul_f32 v[26:27], v[134:135], v[26:27]                // 00000000F9B8: D3B1401A 18023586
	v_mul_f32_dpp v24, v140, v24 row_newbcast:4 row_mask:0xf bank_mask:0xf// 00000000F9C0: 0A3030FA FF01548C
	v_mul_f32_dpp v25, v140, v25 row_newbcast:5 row_mask:0xf bank_mask:0xf// 00000000F9C8: 0A3232FA FF01558C
	v_mul_f32_dpp v26, v140, v26 row_newbcast:6 row_mask:0xf bank_mask:0xf// 00000000F9D0: 0A3434FA FF01568C
	v_mul_f32_dpp v27, v140, v27 row_newbcast:7 row_mask:0xf bank_mask:0xf// 00000000F9D8: 0A3636FA FF01578C
	v_pk_mul_f32 v[28:29], v[134:135], v[28:29]                // 00000000F9E0: D3B1401C 18023986
	v_pk_mul_f32 v[30:31], v[134:135], v[30:31]                // 00000000F9E8: D3B1401E 18023D86
	v_mul_f32_dpp v28, v140, v28 row_newbcast:8 row_mask:0xf bank_mask:0xf// 00000000F9F0: 0A3838FA FF01588C
	v_mul_f32_dpp v29, v140, v29 row_newbcast:9 row_mask:0xf bank_mask:0xf// 00000000F9F8: 0A3A3AFA FF01598C
	v_mul_f32_dpp v30, v140, v30 row_newbcast:10 row_mask:0xf bank_mask:0xf// 00000000FA00: 0A3C3CFA FF015A8C
	v_mul_f32_dpp v31, v140, v31 row_newbcast:11 row_mask:0xf bank_mask:0xf// 00000000FA08: 0A3E3EFA FF015B8C
	v_pk_mul_f32 v[32:33], v[134:135], v[32:33]                // 00000000FA10: D3B14020 18024186
	v_pk_mul_f32 v[34:35], v[134:135], v[34:35]                // 00000000FA18: D3B14022 18024586
	v_mul_f32_dpp v32, v140, v32 row_newbcast:12 row_mask:0xf bank_mask:0xf// 00000000FA20: 0A4040FA FF015C8C
	v_mul_f32_dpp v33, v140, v33 row_newbcast:13 row_mask:0xf bank_mask:0xf// 00000000FA28: 0A4242FA FF015D8C
	v_mul_f32_dpp v34, v140, v34 row_newbcast:14 row_mask:0xf bank_mask:0xf// 00000000FA30: 0A4444FA FF015E8C
	v_mul_f32_dpp v35, v140, v35 row_newbcast:15 row_mask:0xf bank_mask:0xf// 00000000FA38: 0A4646FA FF015F8C
	v_pk_mul_f32 v[36:37], v[136:137], v[36:37]                // 00000000FA40: D3B14024 18024988
	v_pk_mul_f32 v[38:39], v[136:137], v[38:39]                // 00000000FA48: D3B14026 18024D88
	v_mul_f32_dpp v36, v140, v36 row_newbcast:0 row_mask:0xf bank_mask:0xf// 00000000FA50: 0A4848FA FF01508C
	v_mul_f32_dpp v37, v140, v37 row_newbcast:1 row_mask:0xf bank_mask:0xf// 00000000FA58: 0A4A4AFA FF01518C
	v_mul_f32_dpp v38, v140, v38 row_newbcast:2 row_mask:0xf bank_mask:0xf// 00000000FA60: 0A4C4CFA FF01528C
	v_mul_f32_dpp v39, v140, v39 row_newbcast:3 row_mask:0xf bank_mask:0xf// 00000000FA68: 0A4E4EFA FF01538C
	v_pk_mul_f32 v[40:41], v[136:137], v[40:41]                // 00000000FA70: D3B14028 18025188
	v_pk_mul_f32 v[42:43], v[136:137], v[42:43]                // 00000000FA78: D3B1402A 18025588
	v_mul_f32_dpp v40, v140, v40 row_newbcast:4 row_mask:0xf bank_mask:0xf// 00000000FA80: 0A5050FA FF01548C
	v_mul_f32_dpp v41, v140, v41 row_newbcast:5 row_mask:0xf bank_mask:0xf// 00000000FA88: 0A5252FA FF01558C
	v_mul_f32_dpp v42, v140, v42 row_newbcast:6 row_mask:0xf bank_mask:0xf// 00000000FA90: 0A5454FA FF01568C
	v_mul_f32_dpp v43, v140, v43 row_newbcast:7 row_mask:0xf bank_mask:0xf// 00000000FA98: 0A5656FA FF01578C
	v_pk_mul_f32 v[44:45], v[136:137], v[44:45]                // 00000000FAA0: D3B1402C 18025988
	v_pk_mul_f32 v[46:47], v[136:137], v[46:47]                // 00000000FAA8: D3B1402E 18025D88
	v_mul_f32_dpp v44, v140, v44 row_newbcast:8 row_mask:0xf bank_mask:0xf// 00000000FAB0: 0A5858FA FF01588C
	v_mul_f32_dpp v45, v140, v45 row_newbcast:9 row_mask:0xf bank_mask:0xf// 00000000FAB8: 0A5A5AFA FF01598C
	v_mul_f32_dpp v46, v140, v46 row_newbcast:10 row_mask:0xf bank_mask:0xf// 00000000FAC0: 0A5C5CFA FF015A8C
	v_mul_f32_dpp v47, v140, v47 row_newbcast:11 row_mask:0xf bank_mask:0xf// 00000000FAC8: 0A5E5EFA FF015B8C
	v_pk_mul_f32 v[48:49], v[136:137], v[48:49]                // 00000000FAD0: D3B14030 18026188
	v_pk_mul_f32 v[50:51], v[136:137], v[50:51]                // 00000000FAD8: D3B14032 18026588
	v_mul_f32_dpp v48, v140, v48 row_newbcast:12 row_mask:0xf bank_mask:0xf// 00000000FAE0: 0A6060FA FF015C8C
	v_mul_f32_dpp v49, v140, v49 row_newbcast:13 row_mask:0xf bank_mask:0xf// 00000000FAE8: 0A6262FA FF015D8C
	v_mul_f32_dpp v50, v140, v50 row_newbcast:14 row_mask:0xf bank_mask:0xf// 00000000FAF0: 0A6464FA FF015E8C
	v_mul_f32_dpp v51, v140, v51 row_newbcast:15 row_mask:0xf bank_mask:0xf// 00000000FAF8: 0A6666FA FF015F8C
	v_pk_mul_f32 v[52:53], v[138:139], v[52:53]                // 00000000FB00: D3B14034 1802698A
	v_pk_mul_f32 v[54:55], v[138:139], v[54:55]                // 00000000FB08: D3B14036 18026D8A
	v_mul_f32_dpp v52, v140, v52 row_newbcast:0 row_mask:0xf bank_mask:0xf// 00000000FB10: 0A6868FA FF01508C
	v_mul_f32_dpp v53, v140, v53 row_newbcast:1 row_mask:0xf bank_mask:0xf// 00000000FB18: 0A6A6AFA FF01518C
	v_mul_f32_dpp v54, v140, v54 row_newbcast:2 row_mask:0xf bank_mask:0xf// 00000000FB20: 0A6C6CFA FF01528C
	v_mul_f32_dpp v55, v140, v55 row_newbcast:3 row_mask:0xf bank_mask:0xf// 00000000FB28: 0A6E6EFA FF01538C
	v_pk_mul_f32 v[56:57], v[138:139], v[56:57]                // 00000000FB30: D3B14038 1802718A
	v_pk_mul_f32 v[58:59], v[138:139], v[58:59]                // 00000000FB38: D3B1403A 1802758A
	v_mul_f32_dpp v56, v140, v56 row_newbcast:4 row_mask:0xf bank_mask:0xf// 00000000FB40: 0A7070FA FF01548C
	v_mul_f32_dpp v57, v140, v57 row_newbcast:5 row_mask:0xf bank_mask:0xf// 00000000FB48: 0A7272FA FF01558C
	v_mul_f32_dpp v58, v140, v58 row_newbcast:6 row_mask:0xf bank_mask:0xf// 00000000FB50: 0A7474FA FF01568C
	v_mul_f32_dpp v59, v140, v59 row_newbcast:7 row_mask:0xf bank_mask:0xf// 00000000FB58: 0A7676FA FF01578C
	v_pk_mul_f32 v[60:61], v[138:139], v[60:61]                // 00000000FB60: D3B1403C 1802798A
	v_pk_mul_f32 v[62:63], v[138:139], v[62:63]                // 00000000FB68: D3B1403E 18027D8A
	v_mul_f32_dpp v60, v140, v60 row_newbcast:8 row_mask:0xf bank_mask:0xf// 00000000FB70: 0A7878FA FF01588C
	v_mul_f32_dpp v61, v140, v61 row_newbcast:9 row_mask:0xf bank_mask:0xf// 00000000FB78: 0A7A7AFA FF01598C
	v_mul_f32_dpp v62, v140, v62 row_newbcast:10 row_mask:0xf bank_mask:0xf// 00000000FB80: 0A7C7CFA FF015A8C
	v_mul_f32_dpp v63, v140, v63 row_newbcast:11 row_mask:0xf bank_mask:0xf// 00000000FB88: 0A7E7EFA FF015B8C
	v_pk_mul_f32 v[64:65], v[138:139], v[64:65]                // 00000000FB90: D3B14040 1802818A
	v_pk_mul_f32 v[66:67], v[138:139], v[66:67]                // 00000000FB98: D3B14042 1802858A
	v_mul_f32_dpp v64, v140, v64 row_newbcast:12 row_mask:0xf bank_mask:0xf// 00000000FBA0: 0A8080FA FF015C8C
	v_mul_f32_dpp v65, v140, v65 row_newbcast:13 row_mask:0xf bank_mask:0xf// 00000000FBA8: 0A8282FA FF015D8C
	v_mul_f32_dpp v66, v140, v66 row_newbcast:14 row_mask:0xf bank_mask:0xf// 00000000FBB0: 0A8484FA FF015E8C
	v_mul_f32_dpp v67, v140, v67 row_newbcast:15 row_mask:0xf bank_mask:0xf// 00000000FBB8: 0A8686FA FF015F8C
	v_add_u32_e32 v196, s64, v215                              // 00000000FBC0: 6989AE40
	v_add_u32_e32 v197, 0, v196                                // 00000000FBC4: 698B8880
	v_cmp_lt_u32_e64 s[98:99], v197, v211                      // 00000000FBC8: D0C90062 0003A7C5
	s_nop 0                                                    // 00000000FBD0: BF800000
	v_cndmask_b32_e64 v4, v216, v4, s[98:99]                   // 00000000FBD4: D1000004 018A09D8
	v_add_u32_e32 v197, 1, v196                                // 00000000FBDC: 698B8881
	v_cmp_lt_u32_e64 s[98:99], v197, v211                      // 00000000FBE0: D0C90062 0003A7C5
	s_nop 0                                                    // 00000000FBE8: BF800000
	v_cndmask_b32_e64 v5, v216, v5, s[98:99]                   // 00000000FBEC: D1000005 018A0BD8
	v_add_u32_e32 v197, 2, v196                                // 00000000FBF4: 698B8882
	v_cmp_lt_u32_e64 s[98:99], v197, v211                      // 00000000FBF8: D0C90062 0003A7C5
	s_nop 0                                                    // 00000000FC00: BF800000
	v_cndmask_b32_e64 v6, v216, v6, s[98:99]                   // 00000000FC04: D1000006 018A0DD8
	v_add_u32_e32 v197, 3, v196                                // 00000000FC0C: 698B8883
	v_cmp_lt_u32_e64 s[98:99], v197, v211                      // 00000000FC10: D0C90062 0003A7C5
	s_nop 0                                                    // 00000000FC18: BF800000
	v_cndmask_b32_e64 v7, v216, v7, s[98:99]                   // 00000000FC1C: D1000007 018A0FD8
	v_add_u32_e32 v197, 64, v196                               // 00000000FC24: 698B88C0
	v_cmp_lt_u32_e64 s[98:99], v197, v211                      // 00000000FC28: D0C90062 0003A7C5
	s_nop 0                                                    // 00000000FC30: BF800000
	v_cndmask_b32_e64 v8, v216, v8, s[98:99]                   // 00000000FC34: D1000008 018A11D8
	v_add_u32_e32 v197, 0x41, v196                             // 00000000FC3C: 698B88FF 00000041
	v_cmp_lt_u32_e64 s[98:99], v197, v211                      // 00000000FC44: D0C90062 0003A7C5
	s_nop 0                                                    // 00000000FC4C: BF800000
	v_cndmask_b32_e64 v9, v216, v9, s[98:99]                   // 00000000FC50: D1000009 018A13D8
	v_add_u32_e32 v197, 0x42, v196                             // 00000000FC58: 698B88FF 00000042
	v_cmp_lt_u32_e64 s[98:99], v197, v211                      // 00000000FC60: D0C90062 0003A7C5
	s_nop 0                                                    // 00000000FC68: BF800000
	v_cndmask_b32_e64 v10, v216, v10, s[98:99]                 // 00000000FC6C: D100000A 018A15D8
	v_add_u32_e32 v197, 0x43, v196                             // 00000000FC74: 698B88FF 00000043
	v_cmp_lt_u32_e64 s[98:99], v197, v211                      // 00000000FC7C: D0C90062 0003A7C5
	s_nop 0                                                    // 00000000FC84: BF800000
	v_cndmask_b32_e64 v11, v216, v11, s[98:99]                 // 00000000FC88: D100000B 018A17D8
	v_add_u32_e32 v197, 0x80, v196                             // 00000000FC90: 698B88FF 00000080
	v_cmp_lt_u32_e64 s[98:99], v197, v211                      // 00000000FC98: D0C90062 0003A7C5
	s_nop 0                                                    // 00000000FCA0: BF800000
	v_cndmask_b32_e64 v12, v216, v12, s[98:99]                 // 00000000FCA4: D100000C 018A19D8
	v_add_u32_e32 v197, 0x81, v196                             // 00000000FCAC: 698B88FF 00000081
	v_cmp_lt_u32_e64 s[98:99], v197, v211                      // 00000000FCB4: D0C90062 0003A7C5
	s_nop 0                                                    // 00000000FCBC: BF800000
	v_cndmask_b32_e64 v13, v216, v13, s[98:99]                 // 00000000FCC0: D100000D 018A1BD8
	v_add_u32_e32 v197, 0x82, v196                             // 00000000FCC8: 698B88FF 00000082
	v_cmp_lt_u32_e64 s[98:99], v197, v211                      // 00000000FCD0: D0C90062 0003A7C5
	s_nop 0                                                    // 00000000FCD8: BF800000
	v_cndmask_b32_e64 v14, v216, v14, s[98:99]                 // 00000000FCDC: D100000E 018A1DD8
	v_add_u32_e32 v197, 0x83, v196                             // 00000000FCE4: 698B88FF 00000083
	v_cmp_lt_u32_e64 s[98:99], v197, v211                      // 00000000FCEC: D0C90062 0003A7C5
	s_nop 0                                                    // 00000000FCF4: BF800000
	v_cndmask_b32_e64 v15, v216, v15, s[98:99]                 // 00000000FCF8: D100000F 018A1FD8
	v_add_u32_e32 v197, 0xc0, v196                             // 00000000FD00: 698B88FF 000000C0
	v_cmp_lt_u32_e64 s[98:99], v197, v211                      // 00000000FD08: D0C90062 0003A7C5
	s_nop 0                                                    // 00000000FD10: BF800000
	v_cndmask_b32_e64 v16, v216, v16, s[98:99]                 // 00000000FD14: D1000010 018A21D8
	v_add_u32_e32 v197, 0xc1, v196                             // 00000000FD1C: 698B88FF 000000C1
	v_cmp_lt_u32_e64 s[98:99], v197, v211                      // 00000000FD24: D0C90062 0003A7C5
	s_nop 0                                                    // 00000000FD2C: BF800000
	v_cndmask_b32_e64 v17, v216, v17, s[98:99]                 // 00000000FD30: D1000011 018A23D8
	v_add_u32_e32 v197, 0xc2, v196                             // 00000000FD38: 698B88FF 000000C2
	v_cmp_lt_u32_e64 s[98:99], v197, v211                      // 00000000FD40: D0C90062 0003A7C5
	s_nop 0                                                    // 00000000FD48: BF800000
	v_cndmask_b32_e64 v18, v216, v18, s[98:99]                 // 00000000FD4C: D1000012 018A25D8
	v_add_u32_e32 v197, 0xc3, v196                             // 00000000FD54: 698B88FF 000000C3
	v_cmp_lt_u32_e64 s[98:99], v197, v211                      // 00000000FD5C: D0C90062 0003A7C5
	s_nop 0                                                    // 00000000FD64: BF800000
	v_cndmask_b32_e64 v19, v216, v19, s[98:99]                 // 00000000FD68: D1000013 018A27D8
	v_add_u32_e32 v197, 0, v196                                // 00000000FD70: 698B8880
	v_cmp_lt_u32_e64 s[98:99], v197, v212                      // 00000000FD74: D0C90062 0003A9C5
	s_nop 0                                                    // 00000000FD7C: BF800000
	v_cndmask_b32_e64 v20, v216, v20, s[98:99]                 // 00000000FD80: D1000014 018A29D8
	v_add_u32_e32 v197, 1, v196                                // 00000000FD88: 698B8881
	v_cmp_lt_u32_e64 s[98:99], v197, v212                      // 00000000FD8C: D0C90062 0003A9C5
	s_nop 0                                                    // 00000000FD94: BF800000
	v_cndmask_b32_e64 v21, v216, v21, s[98:99]                 // 00000000FD98: D1000015 018A2BD8
	v_add_u32_e32 v197, 2, v196                                // 00000000FDA0: 698B8882
	v_cmp_lt_u32_e64 s[98:99], v197, v212                      // 00000000FDA4: D0C90062 0003A9C5
	s_nop 0                                                    // 00000000FDAC: BF800000
	v_cndmask_b32_e64 v22, v216, v22, s[98:99]                 // 00000000FDB0: D1000016 018A2DD8
	v_add_u32_e32 v197, 3, v196                                // 00000000FDB8: 698B8883
	v_cmp_lt_u32_e64 s[98:99], v197, v212                      // 00000000FDBC: D0C90062 0003A9C5
	s_nop 0                                                    // 00000000FDC4: BF800000
	v_cndmask_b32_e64 v23, v216, v23, s[98:99]                 // 00000000FDC8: D1000017 018A2FD8
	v_add_u32_e32 v197, 64, v196                               // 00000000FDD0: 698B88C0
	v_cmp_lt_u32_e64 s[98:99], v197, v212                      // 00000000FDD4: D0C90062 0003A9C5
	s_nop 0                                                    // 00000000FDDC: BF800000
	v_cndmask_b32_e64 v24, v216, v24, s[98:99]                 // 00000000FDE0: D1000018 018A31D8
	v_add_u32_e32 v197, 0x41, v196                             // 00000000FDE8: 698B88FF 00000041
	v_cmp_lt_u32_e64 s[98:99], v197, v212                      // 00000000FDF0: D0C90062 0003A9C5
	s_nop 0                                                    // 00000000FDF8: BF800000
	v_cndmask_b32_e64 v25, v216, v25, s[98:99]                 // 00000000FDFC: D1000019 018A33D8
	v_add_u32_e32 v197, 0x42, v196                             // 00000000FE04: 698B88FF 00000042
	v_cmp_lt_u32_e64 s[98:99], v197, v212                      // 00000000FE0C: D0C90062 0003A9C5
	s_nop 0                                                    // 00000000FE14: BF800000
	v_cndmask_b32_e64 v26, v216, v26, s[98:99]                 // 00000000FE18: D100001A 018A35D8
	v_add_u32_e32 v197, 0x43, v196                             // 00000000FE20: 698B88FF 00000043
	v_cmp_lt_u32_e64 s[98:99], v197, v212                      // 00000000FE28: D0C90062 0003A9C5
	s_nop 0                                                    // 00000000FE30: BF800000
	v_cndmask_b32_e64 v27, v216, v27, s[98:99]                 // 00000000FE34: D100001B 018A37D8
	v_add_u32_e32 v197, 0x80, v196                             // 00000000FE3C: 698B88FF 00000080
	v_cmp_lt_u32_e64 s[98:99], v197, v212                      // 00000000FE44: D0C90062 0003A9C5
	s_nop 0                                                    // 00000000FE4C: BF800000
	v_cndmask_b32_e64 v28, v216, v28, s[98:99]                 // 00000000FE50: D100001C 018A39D8
	v_add_u32_e32 v197, 0x81, v196                             // 00000000FE58: 698B88FF 00000081
	v_cmp_lt_u32_e64 s[98:99], v197, v212                      // 00000000FE60: D0C90062 0003A9C5
	s_nop 0                                                    // 00000000FE68: BF800000
	v_cndmask_b32_e64 v29, v216, v29, s[98:99]                 // 00000000FE6C: D100001D 018A3BD8
	v_add_u32_e32 v197, 0x82, v196                             // 00000000FE74: 698B88FF 00000082
	v_cmp_lt_u32_e64 s[98:99], v197, v212                      // 00000000FE7C: D0C90062 0003A9C5
	s_nop 0                                                    // 00000000FE84: BF800000
	v_cndmask_b32_e64 v30, v216, v30, s[98:99]                 // 00000000FE88: D100001E 018A3DD8
	v_add_u32_e32 v197, 0x83, v196                             // 00000000FE90: 698B88FF 00000083
	v_cmp_lt_u32_e64 s[98:99], v197, v212                      // 00000000FE98: D0C90062 0003A9C5
	s_nop 0                                                    // 00000000FEA0: BF800000
	v_cndmask_b32_e64 v31, v216, v31, s[98:99]                 // 00000000FEA4: D100001F 018A3FD8
	v_add_u32_e32 v197, 0xc0, v196                             // 00000000FEAC: 698B88FF 000000C0
	v_cmp_lt_u32_e64 s[98:99], v197, v212                      // 00000000FEB4: D0C90062 0003A9C5
	s_nop 0                                                    // 00000000FEBC: BF800000
	v_cndmask_b32_e64 v32, v216, v32, s[98:99]                 // 00000000FEC0: D1000020 018A41D8
	v_add_u32_e32 v197, 0xc1, v196                             // 00000000FEC8: 698B88FF 000000C1
	v_cmp_lt_u32_e64 s[98:99], v197, v212                      // 00000000FED0: D0C90062 0003A9C5
	s_nop 0                                                    // 00000000FED8: BF800000
	v_cndmask_b32_e64 v33, v216, v33, s[98:99]                 // 00000000FEDC: D1000021 018A43D8
	v_add_u32_e32 v197, 0xc2, v196                             // 00000000FEE4: 698B88FF 000000C2
	v_cmp_lt_u32_e64 s[98:99], v197, v212                      // 00000000FEEC: D0C90062 0003A9C5
	s_nop 0                                                    // 00000000FEF4: BF800000
	v_cndmask_b32_e64 v34, v216, v34, s[98:99]                 // 00000000FEF8: D1000022 018A45D8
	v_add_u32_e32 v197, 0xc3, v196                             // 00000000FF00: 698B88FF 000000C3
	v_cmp_lt_u32_e64 s[98:99], v197, v212                      // 00000000FF08: D0C90062 0003A9C5
	s_nop 0                                                    // 00000000FF10: BF800000
	v_cndmask_b32_e64 v35, v216, v35, s[98:99]                 // 00000000FF14: D1000023 018A47D8
	v_add_u32_e32 v197, 0, v196                                // 00000000FF1C: 698B8880
	v_cmp_lt_u32_e64 s[98:99], v197, v213                      // 00000000FF20: D0C90062 0003ABC5
	s_nop 0                                                    // 00000000FF28: BF800000
	v_cndmask_b32_e64 v36, v216, v36, s[98:99]                 // 00000000FF2C: D1000024 018A49D8
	v_add_u32_e32 v197, 1, v196                                // 00000000FF34: 698B8881
	v_cmp_lt_u32_e64 s[98:99], v197, v213                      // 00000000FF38: D0C90062 0003ABC5
	s_nop 0                                                    // 00000000FF40: BF800000
	v_cndmask_b32_e64 v37, v216, v37, s[98:99]                 // 00000000FF44: D1000025 018A4BD8
	v_add_u32_e32 v197, 2, v196                                // 00000000FF4C: 698B8882
	v_cmp_lt_u32_e64 s[98:99], v197, v213                      // 00000000FF50: D0C90062 0003ABC5
	s_nop 0                                                    // 00000000FF58: BF800000
	v_cndmask_b32_e64 v38, v216, v38, s[98:99]                 // 00000000FF5C: D1000026 018A4DD8
	v_add_u32_e32 v197, 3, v196                                // 00000000FF64: 698B8883
	v_cmp_lt_u32_e64 s[98:99], v197, v213                      // 00000000FF68: D0C90062 0003ABC5
	s_nop 0                                                    // 00000000FF70: BF800000
	v_cndmask_b32_e64 v39, v216, v39, s[98:99]                 // 00000000FF74: D1000027 018A4FD8
	v_add_u32_e32 v197, 64, v196                               // 00000000FF7C: 698B88C0
	v_cmp_lt_u32_e64 s[98:99], v197, v213                      // 00000000FF80: D0C90062 0003ABC5
	s_nop 0                                                    // 00000000FF88: BF800000
	v_cndmask_b32_e64 v40, v216, v40, s[98:99]                 // 00000000FF8C: D1000028 018A51D8
	v_add_u32_e32 v197, 0x41, v196                             // 00000000FF94: 698B88FF 00000041
	v_cmp_lt_u32_e64 s[98:99], v197, v213                      // 00000000FF9C: D0C90062 0003ABC5
	s_nop 0                                                    // 00000000FFA4: BF800000
	v_cndmask_b32_e64 v41, v216, v41, s[98:99]                 // 00000000FFA8: D1000029 018A53D8
	v_add_u32_e32 v197, 0x42, v196                             // 00000000FFB0: 698B88FF 00000042
	v_cmp_lt_u32_e64 s[98:99], v197, v213                      // 00000000FFB8: D0C90062 0003ABC5
	s_nop 0                                                    // 00000000FFC0: BF800000
	v_cndmask_b32_e64 v42, v216, v42, s[98:99]                 // 00000000FFC4: D100002A 018A55D8
	v_add_u32_e32 v197, 0x43, v196                             // 00000000FFCC: 698B88FF 00000043
	v_cmp_lt_u32_e64 s[98:99], v197, v213                      // 00000000FFD4: D0C90062 0003ABC5
	s_nop 0                                                    // 00000000FFDC: BF800000
	v_cndmask_b32_e64 v43, v216, v43, s[98:99]                 // 00000000FFE0: D100002B 018A57D8
	v_add_u32_e32 v197, 0x80, v196                             // 00000000FFE8: 698B88FF 00000080
	v_cmp_lt_u32_e64 s[98:99], v197, v213                      // 00000000FFF0: D0C90062 0003ABC5
	s_nop 0                                                    // 00000000FFF8: BF800000
	v_cndmask_b32_e64 v44, v216, v44, s[98:99]                 // 00000000FFFC: D100002C 018A59D8
	v_add_u32_e32 v197, 0x81, v196                             // 000000010004: 698B88FF 00000081
	v_cmp_lt_u32_e64 s[98:99], v197, v213                      // 00000001000C: D0C90062 0003ABC5
	s_nop 0                                                    // 000000010014: BF800000
	v_cndmask_b32_e64 v45, v216, v45, s[98:99]                 // 000000010018: D100002D 018A5BD8
	v_add_u32_e32 v197, 0x82, v196                             // 000000010020: 698B88FF 00000082
	v_cmp_lt_u32_e64 s[98:99], v197, v213                      // 000000010028: D0C90062 0003ABC5
	s_nop 0                                                    // 000000010030: BF800000
	v_cndmask_b32_e64 v46, v216, v46, s[98:99]                 // 000000010034: D100002E 018A5DD8
	v_add_u32_e32 v197, 0x83, v196                             // 00000001003C: 698B88FF 00000083
	v_cmp_lt_u32_e64 s[98:99], v197, v213                      // 000000010044: D0C90062 0003ABC5
	s_nop 0                                                    // 00000001004C: BF800000
	v_cndmask_b32_e64 v47, v216, v47, s[98:99]                 // 000000010050: D100002F 018A5FD8
	v_add_u32_e32 v197, 0xc0, v196                             // 000000010058: 698B88FF 000000C0
	v_cmp_lt_u32_e64 s[98:99], v197, v213                      // 000000010060: D0C90062 0003ABC5
	s_nop 0                                                    // 000000010068: BF800000
	v_cndmask_b32_e64 v48, v216, v48, s[98:99]                 // 00000001006C: D1000030 018A61D8
	v_add_u32_e32 v197, 0xc1, v196                             // 000000010074: 698B88FF 000000C1
	v_cmp_lt_u32_e64 s[98:99], v197, v213                      // 00000001007C: D0C90062 0003ABC5
	s_nop 0                                                    // 000000010084: BF800000
	v_cndmask_b32_e64 v49, v216, v49, s[98:99]                 // 000000010088: D1000031 018A63D8
	v_add_u32_e32 v197, 0xc2, v196                             // 000000010090: 698B88FF 000000C2
	v_cmp_lt_u32_e64 s[98:99], v197, v213                      // 000000010098: D0C90062 0003ABC5
	s_nop 0                                                    // 0000000100A0: BF800000
	v_cndmask_b32_e64 v50, v216, v50, s[98:99]                 // 0000000100A4: D1000032 018A65D8
	v_add_u32_e32 v197, 0xc3, v196                             // 0000000100AC: 698B88FF 000000C3
	v_cmp_lt_u32_e64 s[98:99], v197, v213                      // 0000000100B4: D0C90062 0003ABC5
	s_nop 0                                                    // 0000000100BC: BF800000
	v_cndmask_b32_e64 v51, v216, v51, s[98:99]                 // 0000000100C0: D1000033 018A67D8
	v_add_u32_e32 v197, 0, v196                                // 0000000100C8: 698B8880
	v_cmp_lt_u32_e64 s[98:99], v197, v214                      // 0000000100CC: D0C90062 0003ADC5
	s_nop 0                                                    // 0000000100D4: BF800000
	v_cndmask_b32_e64 v52, v216, v52, s[98:99]                 // 0000000100D8: D1000034 018A69D8
	v_add_u32_e32 v197, 1, v196                                // 0000000100E0: 698B8881
	v_cmp_lt_u32_e64 s[98:99], v197, v214                      // 0000000100E4: D0C90062 0003ADC5
	s_nop 0                                                    // 0000000100EC: BF800000
	v_cndmask_b32_e64 v53, v216, v53, s[98:99]                 // 0000000100F0: D1000035 018A6BD8
	v_add_u32_e32 v197, 2, v196                                // 0000000100F8: 698B8882
	v_cmp_lt_u32_e64 s[98:99], v197, v214                      // 0000000100FC: D0C90062 0003ADC5
	s_nop 0                                                    // 000000010104: BF800000
	v_cndmask_b32_e64 v54, v216, v54, s[98:99]                 // 000000010108: D1000036 018A6DD8
	v_add_u32_e32 v197, 3, v196                                // 000000010110: 698B8883
	v_cmp_lt_u32_e64 s[98:99], v197, v214                      // 000000010114: D0C90062 0003ADC5
	s_nop 0                                                    // 00000001011C: BF800000
	v_cndmask_b32_e64 v55, v216, v55, s[98:99]                 // 000000010120: D1000037 018A6FD8
	v_add_u32_e32 v197, 64, v196                               // 000000010128: 698B88C0
	v_cmp_lt_u32_e64 s[98:99], v197, v214                      // 00000001012C: D0C90062 0003ADC5
	s_nop 0                                                    // 000000010134: BF800000
	v_cndmask_b32_e64 v56, v216, v56, s[98:99]                 // 000000010138: D1000038 018A71D8
	v_add_u32_e32 v197, 0x41, v196                             // 000000010140: 698B88FF 00000041
	v_cmp_lt_u32_e64 s[98:99], v197, v214                      // 000000010148: D0C90062 0003ADC5
	s_nop 0                                                    // 000000010150: BF800000
	v_cndmask_b32_e64 v57, v216, v57, s[98:99]                 // 000000010154: D1000039 018A73D8
	v_add_u32_e32 v197, 0x42, v196                             // 00000001015C: 698B88FF 00000042
	v_cmp_lt_u32_e64 s[98:99], v197, v214                      // 000000010164: D0C90062 0003ADC5
	s_nop 0                                                    // 00000001016C: BF800000
	v_cndmask_b32_e64 v58, v216, v58, s[98:99]                 // 000000010170: D100003A 018A75D8
	v_add_u32_e32 v197, 0x43, v196                             // 000000010178: 698B88FF 00000043
	v_cmp_lt_u32_e64 s[98:99], v197, v214                      // 000000010180: D0C90062 0003ADC5
	s_nop 0                                                    // 000000010188: BF800000
	v_cndmask_b32_e64 v59, v216, v59, s[98:99]                 // 00000001018C: D100003B 018A77D8
	v_add_u32_e32 v197, 0x80, v196                             // 000000010194: 698B88FF 00000080
	v_cmp_lt_u32_e64 s[98:99], v197, v214                      // 00000001019C: D0C90062 0003ADC5
	s_nop 0                                                    // 0000000101A4: BF800000
	v_cndmask_b32_e64 v60, v216, v60, s[98:99]                 // 0000000101A8: D100003C 018A79D8
	v_add_u32_e32 v197, 0x81, v196                             // 0000000101B0: 698B88FF 00000081
	v_cmp_lt_u32_e64 s[98:99], v197, v214                      // 0000000101B8: D0C90062 0003ADC5
	s_nop 0                                                    // 0000000101C0: BF800000
	v_cndmask_b32_e64 v61, v216, v61, s[98:99]                 // 0000000101C4: D100003D 018A7BD8
	v_add_u32_e32 v197, 0x82, v196                             // 0000000101CC: 698B88FF 00000082
	v_cmp_lt_u32_e64 s[98:99], v197, v214                      // 0000000101D4: D0C90062 0003ADC5
	s_nop 0                                                    // 0000000101DC: BF800000
	v_cndmask_b32_e64 v62, v216, v62, s[98:99]                 // 0000000101E0: D100003E 018A7DD8
	v_add_u32_e32 v197, 0x83, v196                             // 0000000101E8: 698B88FF 00000083
	v_cmp_lt_u32_e64 s[98:99], v197, v214                      // 0000000101F0: D0C90062 0003ADC5
	s_nop 0                                                    // 0000000101F8: BF800000
	v_cndmask_b32_e64 v63, v216, v63, s[98:99]                 // 0000000101FC: D100003F 018A7FD8
	v_add_u32_e32 v197, 0xc0, v196                             // 000000010204: 698B88FF 000000C0
	v_cmp_lt_u32_e64 s[98:99], v197, v214                      // 00000001020C: D0C90062 0003ADC5
	s_nop 0                                                    // 000000010214: BF800000
	v_cndmask_b32_e64 v64, v216, v64, s[98:99]                 // 000000010218: D1000040 018A81D8
	v_add_u32_e32 v197, 0xc1, v196                             // 000000010220: 698B88FF 000000C1
	v_cmp_lt_u32_e64 s[98:99], v197, v214                      // 000000010228: D0C90062 0003ADC5
	s_nop 0                                                    // 000000010230: BF800000
	v_cndmask_b32_e64 v65, v216, v65, s[98:99]                 // 000000010234: D1000041 018A83D8
	v_add_u32_e32 v197, 0xc2, v196                             // 00000001023C: 698B88FF 000000C2
	v_cmp_lt_u32_e64 s[98:99], v197, v214                      // 000000010244: D0C90062 0003ADC5
	s_nop 0                                                    // 00000001024C: BF800000
	v_cndmask_b32_e64 v66, v216, v66, s[98:99]                 // 000000010250: D1000042 018A85D8
	v_add_u32_e32 v197, 0xc3, v196                             // 000000010258: 698B88FF 000000C3
	v_cmp_lt_u32_e64 s[98:99], v197, v214                      // 000000010260: D0C90062 0003ADC5
	s_nop 0                                                    // 000000010268: BF800000
	v_cndmask_b32_e64 v67, v216, v67, s[98:99]                 // 00000001026C: D1000043 018A87D8
	v_mov_b32_e32 v176, v4                                     // 000000010274: 7F600304
	v_max3_f32 v176, v4, v5, v176                              // 000000010278: D1D300B0 06C20B04
	v_max3_f32 v176, v6, v7, v176                              // 000000010280: D1D300B0 06C20F06
	v_max3_f32 v176, v8, v9, v176                              // 000000010288: D1D300B0 06C21308
	v_max3_f32 v176, v10, v11, v176                            // 000000010290: D1D300B0 06C2170A
	v_max3_f32 v176, v12, v13, v176                            // 000000010298: D1D300B0 06C21B0C
	v_max3_f32 v176, v14, v15, v176                            // 0000000102A0: D1D300B0 06C21F0E
	v_max3_f32 v176, v16, v17, v176                            // 0000000102A8: D1D300B0 06C22310
	v_max3_f32 v176, v18, v19, v176                            // 0000000102B0: D1D300B0 06C22712
	v_mov_b32_e32 v177, v20                                    // 0000000102B8: 7F620314
	v_max3_f32 v177, v20, v21, v177                            // 0000000102BC: D1D300B1 06C62B14
	v_max3_f32 v177, v22, v23, v177                            // 0000000102C4: D1D300B1 06C62F16
	v_max3_f32 v177, v24, v25, v177                            // 0000000102CC: D1D300B1 06C63318
	v_max3_f32 v177, v26, v27, v177                            // 0000000102D4: D1D300B1 06C6371A
	v_max3_f32 v177, v28, v29, v177                            // 0000000102DC: D1D300B1 06C63B1C
	v_max3_f32 v177, v30, v31, v177                            // 0000000102E4: D1D300B1 06C63F1E
	v_max3_f32 v177, v32, v33, v177                            // 0000000102EC: D1D300B1 06C64320
	v_max3_f32 v177, v34, v35, v177                            // 0000000102F4: D1D300B1 06C64722
	v_mov_b32_e32 v178, v36                                    // 0000000102FC: 7F640324
	v_max3_f32 v178, v36, v37, v178                            // 000000010300: D1D300B2 06CA4B24
	v_max3_f32 v178, v38, v39, v178                            // 000000010308: D1D300B2 06CA4F26
	v_max3_f32 v178, v40, v41, v178                            // 000000010310: D1D300B2 06CA5328
	v_max3_f32 v178, v42, v43, v178                            // 000000010318: D1D300B2 06CA572A
	v_max3_f32 v178, v44, v45, v178                            // 000000010320: D1D300B2 06CA5B2C
	v_max3_f32 v178, v46, v47, v178                            // 000000010328: D1D300B2 06CA5F2E
	v_max3_f32 v178, v48, v49, v178                            // 000000010330: D1D300B2 06CA6330
	v_max3_f32 v178, v50, v51, v178                            // 000000010338: D1D300B2 06CA6732
	v_mov_b32_e32 v179, v52                                    // 000000010340: 7F660334
	v_max3_f32 v179, v52, v53, v179                            // 000000010344: D1D300B3 06CE6B34
	v_max3_f32 v179, v54, v55, v179                            // 00000001034C: D1D300B3 06CE6F36
	v_max3_f32 v179, v56, v57, v179                            // 000000010354: D1D300B3 06CE7338
	v_max3_f32 v179, v58, v59, v179                            // 00000001035C: D1D300B3 06CE773A
	v_max3_f32 v179, v60, v61, v179                            // 000000010364: D1D300B3 06CE7B3C
	v_max3_f32 v179, v62, v63, v179                            // 00000001036C: D1D300B3 06CE7F3E
	v_max3_f32 v179, v64, v65, v179                            // 000000010374: D1D300B3 06CE8340
	v_max3_f32 v179, v66, v67, v179                            // 00000001037C: D1D300B3 06CE8742
	ds_bpermute_b32 v180, v200, v176                           // 000000010384: D87E0000 B400B0C8
	ds_bpermute_b32 v181, v201, v176                           // 00000001038C: D87E0000 B500B0C9
	ds_bpermute_b32 v182, v202, v176                           // 000000010394: D87E0000 B600B0CA
	ds_bpermute_b32 v183, v200, v177                           // 00000001039C: D87E0000 B700B1C8
	ds_bpermute_b32 v184, v201, v177                           // 0000000103A4: D87E0000 B800B1C9
	ds_bpermute_b32 v185, v202, v177                           // 0000000103AC: D87E0000 B900B1CA
	ds_bpermute_b32 v186, v200, v178                           // 0000000103B4: D87E0000 BA00B2C8
	ds_bpermute_b32 v187, v201, v178                           // 0000000103BC: D87E0000 BB00B2C9
	ds_bpermute_b32 v188, v202, v178                           // 0000000103C4: D87E0000 BC00B2CA
	ds_bpermute_b32 v189, v200, v179                           // 0000000103CC: D87E0000 BD00B3C8
	ds_bpermute_b32 v190, v201, v179                           // 0000000103D4: D87E0000 BE00B3C9
	ds_bpermute_b32 v191, v202, v179                           // 0000000103DC: D87E0000 BF00B3CA
	v_pk_mul_f32 v[100:101], v[160:161], v[100:101]            // 0000000103E4: D3B14064 1802C9A0
	v_pk_mul_f32 v[102:103], v[160:161], v[102:103]            // 0000000103EC: D3B14066 1802CDA0
	v_pk_mul_f32 v[104:105], v[160:161], v[104:105]            // 0000000103F4: D3B14068 1802D1A0
	v_pk_mul_f32 v[106:107], v[160:161], v[106:107]            // 0000000103FC: D3B1406A 1802D5A0
	v_pk_mul_f32 v[108:109], v[162:163], v[108:109]            // 000000010404: D3B1406C 1802D9A2
	v_pk_mul_f32 v[110:111], v[162:163], v[110:111]            // 00000001040C: D3B1406E 1802DDA2
	v_pk_mul_f32 v[112:113], v[162:163], v[112:113]            // 000000010414: D3B14070 1802E1A2
	v_pk_mul_f32 v[114:115], v[162:163], v[114:115]            // 00000001041C: D3B14072 1802E5A2
	v_pk_mul_f32 v[116:117], v[164:165], v[116:117]            // 000000010424: D3B14074 1802E9A4
	v_pk_mul_f32 v[118:119], v[164:165], v[118:119]            // 00000001042C: D3B14076 1802EDA4
	v_pk_mul_f32 v[120:121], v[164:165], v[120:121]            // 000000010434: D3B14078 1802F1A4
	v_pk_mul_f32 v[122:123], v[164:165], v[122:123]            // 00000001043C: D3B1407A 1802F5A4
	v_pk_mul_f32 v[124:125], v[166:167], v[124:125]            // 000000010444: D3B1407C 1802F9A6
	v_pk_mul_f32 v[126:127], v[166:167], v[126:127]            // 00000001044C: D3B1407E 1802FDA6
	v_pk_mul_f32 v[128:129], v[166:167], v[128:129]            // 000000010454: D3B14080 180301A6
	v_pk_mul_f32 v[130:131], v[166:167], v[130:131]            // 00000001045C: D3B14082 180305A6
	s_waitcnt lgkmcnt(9)                                       // 000000010464: BF8CC97F
	v_max3_f32 v176, v180, v181, v176                          // 000000010468: D1D300B0 06C36BB4
	v_max_f32_e32 v176, v182, v176                             // 000000010470: 176161B6
	s_waitcnt lgkmcnt(6)                                       // 000000010474: BF8CC67F
	v_max3_f32 v177, v183, v184, v177                          // 000000010478: D1D300B1 06C771B7
	v_max_f32_e32 v177, v185, v177                             // 000000010480: 176363B9
	s_waitcnt lgkmcnt(3)                                       // 000000010484: BF8CC37F
	v_max3_f32 v178, v186, v187, v178                          // 000000010488: D1D300B2 06CB77BA
	v_max_f32_e32 v178, v188, v178                             // 000000010490: 176565BC
	s_waitcnt lgkmcnt(0)                                       // 000000010494: BF8CC07F
	v_max3_f32 v179, v189, v190, v179                          // 000000010498: D1D300B3 06CF7DBD
	v_max_f32_e32 v179, v191, v179                             // 0000000104A0: 176767BF
	ds_write_b128 v247, v[176:179]                             // 0000000104A4: D9BE0000 0000B0F7
	s_waitcnt lgkmcnt(0)                                       // 0000000104AC: BF8CC07F
	s_barrier                                                  // 0000000104B0: BF8A0000
	ds_read_b128 v[180:183], v248                              // 0000000104B4: D9FE0000 B40000F8
	ds_read_b128 v[184:187], v248 offset:256                   // 0000000104BC: D9FE0100 B80000F8
	ds_read_b128 v[188:191], v248 offset:512                   // 0000000104C4: D9FE0200 BC0000F8
	ds_read_b128 v[192:195], v248 offset:768                   // 0000000104CC: D9FE0300 C00000F8
	v_pk_mul_f32 v[68:69], v[144:145], v[68:69]                // 0000000104D4: D3B14044 18028990
	v_pk_mul_f32 v[70:71], v[144:145], v[70:71]                // 0000000104DC: D3B14046 18028D90
	v_pk_mul_f32 v[72:73], v[144:145], v[72:73]                // 0000000104E4: D3B14048 18029190
	v_pk_mul_f32 v[74:75], v[144:145], v[74:75]                // 0000000104EC: D3B1404A 18029590
	v_pk_mul_f32 v[76:77], v[146:147], v[76:77]                // 0000000104F4: D3B1404C 18029992
	v_pk_mul_f32 v[78:79], v[146:147], v[78:79]                // 0000000104FC: D3B1404E 18029D92
	v_pk_mul_f32 v[80:81], v[146:147], v[80:81]                // 000000010504: D3B14050 1802A192
	v_pk_mul_f32 v[82:83], v[146:147], v[82:83]                // 00000001050C: D3B14052 1802A592
	v_pk_mul_f32 v[84:85], v[148:149], v[84:85]                // 000000010514: D3B14054 1802A994
	v_pk_mul_f32 v[86:87], v[148:149], v[86:87]                // 00000001051C: D3B14056 1802AD94
	v_pk_mul_f32 v[88:89], v[148:149], v[88:89]                // 000000010524: D3B14058 1802B194
	v_pk_mul_f32 v[90:91], v[148:149], v[90:91]                // 00000001052C: D3B1405A 1802B594
	v_pk_mul_f32 v[92:93], v[150:151], v[92:93]                // 000000010534: D3B1405C 1802B996
	v_pk_mul_f32 v[94:95], v[150:151], v[94:95]                // 00000001053C: D3B1405E 1802BD96
	v_pk_mul_f32 v[96:97], v[150:151], v[96:97]                // 000000010544: D3B14060 1802C196
	v_pk_mul_f32 v[98:99], v[150:151], v[98:99]                // 00000001054C: D3B14062 1802C596
	s_waitcnt lgkmcnt(0)                                       // 000000010554: BF8CC07F
	v_max3_f32 v176, v180, v184, v176                          // 000000010558: D1D300B0 06C371B4
	v_max3_f32 v177, v181, v185, v177                          // 000000010560: D1D300B1 06C773B5
	v_max3_f32 v178, v182, v186, v178                          // 000000010568: D1D300B2 06CB75B6
	v_max3_f32 v179, v183, v187, v179                          // 000000010570: D1D300B3 06CF77B7
	v_max3_f32 v176, v188, v192, v176                          // 000000010578: D1D300B0 06C381BC
	v_max3_f32 v177, v189, v193, v177                          // 000000010580: D1D300B1 06C783BD
	v_max3_f32 v178, v190, v194, v178                          // 000000010588: D1D300B2 06CB85BE
	v_max3_f32 v179, v191, v195, v179                          // 000000010590: D1D300B3 06CF87BF
	v_max_f32_e32 v156, v176, v152                             // 000000010598: 173931B0
	v_mul_f32_e64 v196, -s46, v156                             // 00000001059C: D10500C4 2003382E
	v_mov_b32_e32 v197, v196                                   // 0000000105A4: 7F8A03C4
	v_pk_fma_f32 v[4:5], v[4:5], s[46:47], v[196:197]          // 0000000105A8: D3B04004 1F105D04
	v_pk_fma_f32 v[6:7], v[6:7], s[46:47], v[196:197]          // 0000000105B0: D3B04006 1F105D06
	v_exp_f32_e32 v4, v4                                       // 0000000105B8: 7E084104
	v_exp_f32_e32 v5, v5                                       // 0000000105BC: 7E0A4105
	v_exp_f32_e32 v6, v6                                       // 0000000105C0: 7E0C4106
	v_exp_f32_e32 v7, v7                                       // 0000000105C4: 7E0E4107
	v_pk_fma_f32 v[8:9], v[8:9], s[46:47], v[196:197]          // 0000000105C8: D3B04008 1F105D08
	v_pk_fma_f32 v[10:11], v[10:11], s[46:47], v[196:197]      // 0000000105D0: D3B0400A 1F105D0A
	v_exp_f32_e32 v8, v8                                       // 0000000105D8: 7E104108
	v_exp_f32_e32 v9, v9                                       // 0000000105DC: 7E124109
	v_exp_f32_e32 v10, v10                                     // 0000000105E0: 7E14410A
	v_exp_f32_e32 v11, v11                                     // 0000000105E4: 7E16410B
	v_pk_fma_f32 v[12:13], v[12:13], s[46:47], v[196:197]      // 0000000105E8: D3B0400C 1F105D0C
	v_pk_fma_f32 v[14:15], v[14:15], s[46:47], v[196:197]      // 0000000105F0: D3B0400E 1F105D0E
	v_exp_f32_e32 v12, v12                                     // 0000000105F8: 7E18410C
	v_exp_f32_e32 v13, v13                                     // 0000000105FC: 7E1A410D
	v_exp_f32_e32 v14, v14                                     // 000000010600: 7E1C410E
	v_exp_f32_e32 v15, v15                                     // 000000010604: 7E1E410F
	v_pk_fma_f32 v[16:17], v[16:17], s[46:47], v[196:197]      // 000000010608: D3B04010 1F105D10
	v_pk_fma_f32 v[18:19], v[18:19], s[46:47], v[196:197]      // 000000010610: D3B04012 1F105D12
	v_exp_f32_e32 v16, v16                                     // 000000010618: 7E204110
	v_exp_f32_e32 v17, v17                                     // 00000001061C: 7E224111
	v_exp_f32_e32 v18, v18                                     // 000000010620: 7E244112
	v_exp_f32_e32 v19, v19                                     // 000000010624: 7E264113
	v_max_f32_e32 v157, v177, v153                             // 000000010628: 173B33B1
	v_mul_f32_e64 v196, -s46, v157                             // 00000001062C: D10500C4 20033A2E
	v_mov_b32_e32 v197, v196                                   // 000000010634: 7F8A03C4
	v_pk_fma_f32 v[20:21], v[20:21], s[46:47], v[196:197]      // 000000010638: D3B04014 1F105D14
	v_pk_fma_f32 v[22:23], v[22:23], s[46:47], v[196:197]      // 000000010640: D3B04016 1F105D16
	v_exp_f32_e32 v20, v20                                     // 000000010648: 7E284114
	v_exp_f32_e32 v21, v21                                     // 00000001064C: 7E2A4115
	v_exp_f32_e32 v22, v22                                     // 000000010650: 7E2C4116
	v_exp_f32_e32 v23, v23                                     // 000000010654: 7E2E4117
	v_pk_fma_f32 v[24:25], v[24:25], s[46:47], v[196:197]      // 000000010658: D3B04018 1F105D18
	v_pk_fma_f32 v[26:27], v[26:27], s[46:47], v[196:197]      // 000000010660: D3B0401A 1F105D1A
	v_exp_f32_e32 v24, v24                                     // 000000010668: 7E304118
	v_exp_f32_e32 v25, v25                                     // 00000001066C: 7E324119
	v_exp_f32_e32 v26, v26                                     // 000000010670: 7E34411A
	v_exp_f32_e32 v27, v27                                     // 000000010674: 7E36411B
	v_pk_fma_f32 v[28:29], v[28:29], s[46:47], v[196:197]      // 000000010678: D3B0401C 1F105D1C
	v_pk_fma_f32 v[30:31], v[30:31], s[46:47], v[196:197]      // 000000010680: D3B0401E 1F105D1E
	v_exp_f32_e32 v28, v28                                     // 000000010688: 7E38411C
	v_exp_f32_e32 v29, v29                                     // 00000001068C: 7E3A411D
	v_exp_f32_e32 v30, v30                                     // 000000010690: 7E3C411E
	v_exp_f32_e32 v31, v31                                     // 000000010694: 7E3E411F
	v_pk_fma_f32 v[32:33], v[32:33], s[46:47], v[196:197]      // 000000010698: D3B04020 1F105D20
	v_pk_fma_f32 v[34:35], v[34:35], s[46:47], v[196:197]      // 0000000106A0: D3B04022 1F105D22
	v_exp_f32_e32 v32, v32                                     // 0000000106A8: 7E404120
	v_exp_f32_e32 v33, v33                                     // 0000000106AC: 7E424121
	v_exp_f32_e32 v34, v34                                     // 0000000106B0: 7E444122
	v_exp_f32_e32 v35, v35                                     // 0000000106B4: 7E464123
	v_max_f32_e32 v158, v178, v154                             // 0000000106B8: 173D35B2
	v_mul_f32_e64 v196, -s46, v158                             // 0000000106BC: D10500C4 20033C2E
	v_mov_b32_e32 v197, v196                                   // 0000000106C4: 7F8A03C4
	v_pk_fma_f32 v[36:37], v[36:37], s[46:47], v[196:197]      // 0000000106C8: D3B04024 1F105D24
	v_pk_fma_f32 v[38:39], v[38:39], s[46:47], v[196:197]      // 0000000106D0: D3B04026 1F105D26
	v_exp_f32_e32 v36, v36                                     // 0000000106D8: 7E484124
	v_exp_f32_e32 v37, v37                                     // 0000000106DC: 7E4A4125
	v_exp_f32_e32 v38, v38                                     // 0000000106E0: 7E4C4126
	v_exp_f32_e32 v39, v39                                     // 0000000106E4: 7E4E4127
	v_pk_fma_f32 v[40:41], v[40:41], s[46:47], v[196:197]      // 0000000106E8: D3B04028 1F105D28
	v_pk_fma_f32 v[42:43], v[42:43], s[46:47], v[196:197]      // 0000000106F0: D3B0402A 1F105D2A
	v_exp_f32_e32 v40, v40                                     // 0000000106F8: 7E504128
	v_exp_f32_e32 v41, v41                                     // 0000000106FC: 7E524129
	v_exp_f32_e32 v42, v42                                     // 000000010700: 7E54412A
	v_exp_f32_e32 v43, v43                                     // 000000010704: 7E56412B
	v_pk_fma_f32 v[44:45], v[44:45], s[46:47], v[196:197]      // 000000010708: D3B0402C 1F105D2C
	v_pk_fma_f32 v[46:47], v[46:47], s[46:47], v[196:197]      // 000000010710: D3B0402E 1F105D2E
	v_exp_f32_e32 v44, v44                                     // 000000010718: 7E58412C
	v_exp_f32_e32 v45, v45                                     // 00000001071C: 7E5A412D
	v_exp_f32_e32 v46, v46                                     // 000000010720: 7E5C412E
	v_exp_f32_e32 v47, v47                                     // 000000010724: 7E5E412F
	v_pk_fma_f32 v[48:49], v[48:49], s[46:47], v[196:197]      // 000000010728: D3B04030 1F105D30
	v_pk_fma_f32 v[50:51], v[50:51], s[46:47], v[196:197]      // 000000010730: D3B04032 1F105D32
	v_exp_f32_e32 v48, v48                                     // 000000010738: 7E604130
	v_exp_f32_e32 v49, v49                                     // 00000001073C: 7E624131
	v_exp_f32_e32 v50, v50                                     // 000000010740: 7E644132
	v_exp_f32_e32 v51, v51                                     // 000000010744: 7E664133
	v_max_f32_e32 v159, v179, v155                             // 000000010748: 173F37B3
	v_mul_f32_e64 v196, -s46, v159                             // 00000001074C: D10500C4 20033E2E
	v_mov_b32_e32 v197, v196                                   // 000000010754: 7F8A03C4
	v_pk_fma_f32 v[52:53], v[52:53], s[46:47], v[196:197]      // 000000010758: D3B04034 1F105D34
	v_pk_fma_f32 v[54:55], v[54:55], s[46:47], v[196:197]      // 000000010760: D3B04036 1F105D36
	v_exp_f32_e32 v52, v52                                     // 000000010768: 7E684134
	v_exp_f32_e32 v53, v53                                     // 00000001076C: 7E6A4135
	v_exp_f32_e32 v54, v54                                     // 000000010770: 7E6C4136
	v_exp_f32_e32 v55, v55                                     // 000000010774: 7E6E4137
	v_pk_fma_f32 v[56:57], v[56:57], s[46:47], v[196:197]      // 000000010778: D3B04038 1F105D38
	v_pk_fma_f32 v[58:59], v[58:59], s[46:47], v[196:197]      // 000000010780: D3B0403A 1F105D3A
	v_exp_f32_e32 v56, v56                                     // 000000010788: 7E704138
	v_exp_f32_e32 v57, v57                                     // 00000001078C: 7E724139
	v_exp_f32_e32 v58, v58                                     // 000000010790: 7E74413A
	v_exp_f32_e32 v59, v59                                     // 000000010794: 7E76413B
	v_pk_fma_f32 v[60:61], v[60:61], s[46:47], v[196:197]      // 000000010798: D3B0403C 1F105D3C
	v_pk_fma_f32 v[62:63], v[62:63], s[46:47], v[196:197]      // 0000000107A0: D3B0403E 1F105D3E
	v_exp_f32_e32 v60, v60                                     // 0000000107A8: 7E78413C
	v_exp_f32_e32 v61, v61                                     // 0000000107AC: 7E7A413D
	v_exp_f32_e32 v62, v62                                     // 0000000107B0: 7E7C413E
	v_exp_f32_e32 v63, v63                                     // 0000000107B4: 7E7E413F
	v_pk_fma_f32 v[64:65], v[64:65], s[46:47], v[196:197]      // 0000000107B8: D3B04040 1F105D40
	v_pk_fma_f32 v[66:67], v[66:67], s[46:47], v[196:197]      // 0000000107C0: D3B04042 1F105D42
	v_exp_f32_e32 v64, v64                                     // 0000000107C8: 7E804140
	v_exp_f32_e32 v65, v65                                     // 0000000107CC: 7E824141
	v_exp_f32_e32 v66, v66                                     // 0000000107D0: 7E844142
	v_exp_f32_e32 v67, v67                                     // 0000000107D4: 7E864143
	v_sub_f32_e32 v160, v152, v156                             // 0000000107D8: 05413998
	v_cmp_eq_u32_e64 s[98:99], v216, v152                      // 0000000107DC: D0CA0062 000331D8
	v_cndmask_b32_e64 v160, v160, 0, s[98:99]                  // 0000000107E4: D10000A0 018901A0
	v_mov_b32_e32 v152, v156                                   // 0000000107EC: 7F30039C
	v_mul_f32_e32 v160, s46, v160                              // 0000000107F0: 0B41402E
	v_exp_f32_e32 v160, v160                                   // 0000000107F4: 7F4041A0
	v_sub_f32_e32 v162, v153, v157                             // 0000000107F8: 05453B99
	v_cmp_eq_u32_e64 s[98:99], v216, v153                      // 0000000107FC: D0CA0062 000333D8
	v_cndmask_b32_e64 v162, v162, 0, s[98:99]                  // 000000010804: D10000A2 018901A2
	v_mov_b32_e32 v153, v157                                   // 00000001080C: 7F32039D
	v_mul_f32_e32 v162, s46, v162                              // 000000010810: 0B45442E
	v_exp_f32_e32 v162, v162                                   // 000000010814: 7F4441A2
	v_sub_f32_e32 v164, v154, v158                             // 000000010818: 05493D9A
	v_cmp_eq_u32_e64 s[98:99], v216, v154                      // 00000001081C: D0CA0062 000335D8
	v_cndmask_b32_e64 v164, v164, 0, s[98:99]                  // 000000010824: D10000A4 018901A4
	v_mov_b32_e32 v154, v158                                   // 00000001082C: 7F34039E
	v_mul_f32_e32 v164, s46, v164                              // 000000010830: 0B49482E
	v_exp_f32_e32 v164, v164                                   // 000000010834: 7F4841A4
	v_sub_f32_e32 v166, v155, v159                             // 000000010838: 054D3F9B
	v_cmp_eq_u32_e64 s[98:99], v216, v155                      // 00000001083C: D0CA0062 000337D8
	v_cndmask_b32_e64 v166, v166, 0, s[98:99]                  // 000000010844: D10000A6 018901A6
	v_mov_b32_e32 v155, v159                                   // 00000001084C: 7F36039F
	v_mul_f32_e32 v166, s46, v166                              // 000000010850: 0B4D4C2E
	v_exp_f32_e32 v166, v166                                   // 000000010854: 7F4C41A6
	v_mov_b32_e32 v161, v160                                   // 000000010858: 7F4203A0
	v_mov_b32_e32 v163, v162                                   // 00000001085C: 7F4603A2
	v_mov_b32_e32 v165, v164                                   // 000000010860: 7F4A03A4
	v_mov_b32_e32 v167, v166                                   // 000000010864: 7F4E03A6
	v_mul_f32_e32 v168, v160, v168                             // 000000010868: 0B5151A0
	v_mov_b32_e32 v169, 0                                      // 00000001086C: 7F520280
	v_pk_add_f32 v[168:169], v[4:5], v[168:169]                // 000000010870: D3B240A8 18035104
	v_pk_add_f32 v[168:169], v[6:7], v[168:169]                // 000000010878: D3B240A8 18035106
	v_pk_add_f32 v[168:169], v[8:9], v[168:169]                // 000000010880: D3B240A8 18035108
	v_pk_add_f32 v[168:169], v[10:11], v[168:169]              // 000000010888: D3B240A8 1803510A
	v_pk_add_f32 v[168:169], v[12:13], v[168:169]              // 000000010890: D3B240A8 1803510C
	v_pk_add_f32 v[168:169], v[14:15], v[168:169]              // 000000010898: D3B240A8 1803510E
	v_pk_add_f32 v[168:169], v[16:17], v[168:169]              // 0000000108A0: D3B240A8 18035110
	v_pk_add_f32 v[168:169], v[18:19], v[168:169]              // 0000000108A8: D3B240A8 18035112
	v_add_f32_e32 v168, v169, v168                             // 0000000108B0: 035151A9
	v_mul_f32_e32 v170, v162, v170                             // 0000000108B4: 0B5555A2
	v_mov_b32_e32 v171, 0                                      // 0000000108B8: 7F560280
	v_pk_add_f32 v[170:171], v[20:21], v[170:171]              // 0000000108BC: D3B240AA 18035514
	v_pk_add_f32 v[170:171], v[22:23], v[170:171]              // 0000000108C4: D3B240AA 18035516
	v_pk_add_f32 v[170:171], v[24:25], v[170:171]              // 0000000108CC: D3B240AA 18035518
	v_pk_add_f32 v[170:171], v[26:27], v[170:171]              // 0000000108D4: D3B240AA 1803551A
	v_pk_add_f32 v[170:171], v[28:29], v[170:171]              // 0000000108DC: D3B240AA 1803551C
	v_pk_add_f32 v[170:171], v[30:31], v[170:171]              // 0000000108E4: D3B240AA 1803551E
	v_pk_add_f32 v[170:171], v[32:33], v[170:171]              // 0000000108EC: D3B240AA 18035520
	v_pk_add_f32 v[170:171], v[34:35], v[170:171]              // 0000000108F4: D3B240AA 18035522
	v_add_f32_e32 v170, v171, v170                             // 0000000108FC: 035555AB
	v_mul_f32_e32 v172, v164, v172                             // 000000010900: 0B5959A4
	v_mov_b32_e32 v173, 0                                      // 000000010904: 7F5A0280
	v_pk_add_f32 v[172:173], v[36:37], v[172:173]              // 000000010908: D3B240AC 18035924
	v_pk_add_f32 v[172:173], v[38:39], v[172:173]              // 000000010910: D3B240AC 18035926
	;; [unrolled: 1-line block ×3, first 2 shown]
	v_pk_add_f32 v[172:173], v[42:43], v[172:173]              // 000000010920: D3B240AC 1803592A
	v_pk_add_f32 v[172:173], v[44:45], v[172:173]              // 000000010928: D3B240AC 1803592C
	v_pk_add_f32 v[172:173], v[46:47], v[172:173]              // 000000010930: D3B240AC 1803592E
	v_pk_add_f32 v[172:173], v[48:49], v[172:173]              // 000000010938: D3B240AC 18035930
	v_pk_add_f32 v[172:173], v[50:51], v[172:173]              // 000000010940: D3B240AC 18035932
	v_add_f32_e32 v172, v173, v172                             // 000000010948: 035959AD
	v_mul_f32_e32 v174, v166, v174                             // 00000001094C: 0B5D5DA6
	v_mov_b32_e32 v175, 0                                      // 000000010950: 7F5E0280
	v_pk_add_f32 v[174:175], v[52:53], v[174:175]              // 000000010954: D3B240AE 18035D34
	v_pk_add_f32 v[174:175], v[54:55], v[174:175]              // 00000001095C: D3B240AE 18035D36
	v_pk_add_f32 v[174:175], v[56:57], v[174:175]              // 000000010964: D3B240AE 18035D38
	v_pk_add_f32 v[174:175], v[58:59], v[174:175]              // 00000001096C: D3B240AE 18035D3A
	v_pk_add_f32 v[174:175], v[60:61], v[174:175]              // 000000010974: D3B240AE 18035D3C
	v_pk_add_f32 v[174:175], v[62:63], v[174:175]              // 00000001097C: D3B240AE 18035D3E
	v_pk_add_f32 v[174:175], v[64:65], v[174:175]              // 000000010984: D3B240AE 18035D40
	v_pk_add_f32 v[174:175], v[66:67], v[174:175]              // 00000001098C: D3B240AE 18035D42
	v_add_f32_e32 v174, v175, v174                             // 000000010994: 035D5DAF
	v_mul_f32_dpp v4, v142, v4 row_newbcast:0 row_mask:0xf bank_mask:0xf// 000000010998: 0A0808FA FF01508E
	v_mul_f32_dpp v5, v142, v5 row_newbcast:1 row_mask:0xf bank_mask:0xf// 0000000109A0: 0A0A0AFA FF01518E
	v_mul_f32_dpp v6, v142, v6 row_newbcast:2 row_mask:0xf bank_mask:0xf// 0000000109A8: 0A0C0CFA FF01528E
	v_mul_f32_dpp v7, v142, v7 row_newbcast:3 row_mask:0xf bank_mask:0xf// 0000000109B0: 0A0E0EFA FF01538E
	v_mul_f32_dpp v8, v142, v8 row_newbcast:4 row_mask:0xf bank_mask:0xf// 0000000109B8: 0A1010FA FF01548E
	v_mul_f32_dpp v9, v142, v9 row_newbcast:5 row_mask:0xf bank_mask:0xf// 0000000109C0: 0A1212FA FF01558E
	v_mul_f32_dpp v10, v142, v10 row_newbcast:6 row_mask:0xf bank_mask:0xf// 0000000109C8: 0A1414FA FF01568E
	v_mul_f32_dpp v11, v142, v11 row_newbcast:7 row_mask:0xf bank_mask:0xf// 0000000109D0: 0A1616FA FF01578E
	v_mul_f32_dpp v12, v142, v12 row_newbcast:8 row_mask:0xf bank_mask:0xf// 0000000109D8: 0A1818FA FF01588E
	v_mul_f32_dpp v13, v142, v13 row_newbcast:9 row_mask:0xf bank_mask:0xf// 0000000109E0: 0A1A1AFA FF01598E
	v_mul_f32_dpp v14, v142, v14 row_newbcast:10 row_mask:0xf bank_mask:0xf// 0000000109E8: 0A1C1CFA FF015A8E
	v_mul_f32_dpp v15, v142, v15 row_newbcast:11 row_mask:0xf bank_mask:0xf// 0000000109F0: 0A1E1EFA FF015B8E
	v_mul_f32_dpp v16, v142, v16 row_newbcast:12 row_mask:0xf bank_mask:0xf// 0000000109F8: 0A2020FA FF015C8E
	v_mul_f32_dpp v17, v142, v17 row_newbcast:13 row_mask:0xf bank_mask:0xf// 000000010A00: 0A2222FA FF015D8E
	v_mul_f32_dpp v18, v142, v18 row_newbcast:14 row_mask:0xf bank_mask:0xf// 000000010A08: 0A2424FA FF015E8E
	v_mul_f32_dpp v19, v142, v19 row_newbcast:15 row_mask:0xf bank_mask:0xf// 000000010A10: 0A2626FA FF015F8E
	v_mul_f32_dpp v20, v142, v20 row_newbcast:0 row_mask:0xf bank_mask:0xf// 000000010A18: 0A2828FA FF01508E
	v_mul_f32_dpp v21, v142, v21 row_newbcast:1 row_mask:0xf bank_mask:0xf// 000000010A20: 0A2A2AFA FF01518E
	v_mul_f32_dpp v22, v142, v22 row_newbcast:2 row_mask:0xf bank_mask:0xf// 000000010A28: 0A2C2CFA FF01528E
	v_mul_f32_dpp v23, v142, v23 row_newbcast:3 row_mask:0xf bank_mask:0xf// 000000010A30: 0A2E2EFA FF01538E
	v_mul_f32_dpp v24, v142, v24 row_newbcast:4 row_mask:0xf bank_mask:0xf// 000000010A38: 0A3030FA FF01548E
	v_mul_f32_dpp v25, v142, v25 row_newbcast:5 row_mask:0xf bank_mask:0xf// 000000010A40: 0A3232FA FF01558E
	v_mul_f32_dpp v26, v142, v26 row_newbcast:6 row_mask:0xf bank_mask:0xf// 000000010A48: 0A3434FA FF01568E
	v_mul_f32_dpp v27, v142, v27 row_newbcast:7 row_mask:0xf bank_mask:0xf// 000000010A50: 0A3636FA FF01578E
	v_mul_f32_dpp v28, v142, v28 row_newbcast:8 row_mask:0xf bank_mask:0xf// 000000010A58: 0A3838FA FF01588E
	v_mul_f32_dpp v29, v142, v29 row_newbcast:9 row_mask:0xf bank_mask:0xf// 000000010A60: 0A3A3AFA FF01598E
	v_mul_f32_dpp v30, v142, v30 row_newbcast:10 row_mask:0xf bank_mask:0xf// 000000010A68: 0A3C3CFA FF015A8E
	v_mul_f32_dpp v31, v142, v31 row_newbcast:11 row_mask:0xf bank_mask:0xf// 000000010A70: 0A3E3EFA FF015B8E
	v_mul_f32_dpp v32, v142, v32 row_newbcast:12 row_mask:0xf bank_mask:0xf// 000000010A78: 0A4040FA FF015C8E
	v_mul_f32_dpp v33, v142, v33 row_newbcast:13 row_mask:0xf bank_mask:0xf// 000000010A80: 0A4242FA FF015D8E
	v_mul_f32_dpp v34, v142, v34 row_newbcast:14 row_mask:0xf bank_mask:0xf// 000000010A88: 0A4444FA FF015E8E
	v_mul_f32_dpp v35, v142, v35 row_newbcast:15 row_mask:0xf bank_mask:0xf// 000000010A90: 0A4646FA FF015F8E
	v_mul_f32_dpp v36, v142, v36 row_newbcast:0 row_mask:0xf bank_mask:0xf// 000000010A98: 0A4848FA FF01508E
	v_mul_f32_dpp v37, v142, v37 row_newbcast:1 row_mask:0xf bank_mask:0xf// 000000010AA0: 0A4A4AFA FF01518E
	v_mul_f32_dpp v38, v142, v38 row_newbcast:2 row_mask:0xf bank_mask:0xf// 000000010AA8: 0A4C4CFA FF01528E
	v_mul_f32_dpp v39, v142, v39 row_newbcast:3 row_mask:0xf bank_mask:0xf// 000000010AB0: 0A4E4EFA FF01538E
	v_mul_f32_dpp v40, v142, v40 row_newbcast:4 row_mask:0xf bank_mask:0xf// 000000010AB8: 0A5050FA FF01548E
	v_mul_f32_dpp v41, v142, v41 row_newbcast:5 row_mask:0xf bank_mask:0xf// 000000010AC0: 0A5252FA FF01558E
	v_mul_f32_dpp v42, v142, v42 row_newbcast:6 row_mask:0xf bank_mask:0xf// 000000010AC8: 0A5454FA FF01568E
	v_mul_f32_dpp v43, v142, v43 row_newbcast:7 row_mask:0xf bank_mask:0xf// 000000010AD0: 0A5656FA FF01578E
	v_mul_f32_dpp v44, v142, v44 row_newbcast:8 row_mask:0xf bank_mask:0xf// 000000010AD8: 0A5858FA FF01588E
	v_mul_f32_dpp v45, v142, v45 row_newbcast:9 row_mask:0xf bank_mask:0xf// 000000010AE0: 0A5A5AFA FF01598E
	v_mul_f32_dpp v46, v142, v46 row_newbcast:10 row_mask:0xf bank_mask:0xf// 000000010AE8: 0A5C5CFA FF015A8E
	v_mul_f32_dpp v47, v142, v47 row_newbcast:11 row_mask:0xf bank_mask:0xf// 000000010AF0: 0A5E5EFA FF015B8E
	v_mul_f32_dpp v48, v142, v48 row_newbcast:12 row_mask:0xf bank_mask:0xf// 000000010AF8: 0A6060FA FF015C8E
	v_mul_f32_dpp v49, v142, v49 row_newbcast:13 row_mask:0xf bank_mask:0xf// 000000010B00: 0A6262FA FF015D8E
	v_mul_f32_dpp v50, v142, v50 row_newbcast:14 row_mask:0xf bank_mask:0xf// 000000010B08: 0A6464FA FF015E8E
	v_mul_f32_dpp v51, v142, v51 row_newbcast:15 row_mask:0xf bank_mask:0xf// 000000010B10: 0A6666FA FF015F8E
	v_mul_f32_dpp v52, v142, v52 row_newbcast:0 row_mask:0xf bank_mask:0xf// 000000010B18: 0A6868FA FF01508E
	v_mul_f32_dpp v53, v142, v53 row_newbcast:1 row_mask:0xf bank_mask:0xf// 000000010B20: 0A6A6AFA FF01518E
	v_mul_f32_dpp v54, v142, v54 row_newbcast:2 row_mask:0xf bank_mask:0xf// 000000010B28: 0A6C6CFA FF01528E
	v_mul_f32_dpp v55, v142, v55 row_newbcast:3 row_mask:0xf bank_mask:0xf// 000000010B30: 0A6E6EFA FF01538E
	v_mul_f32_dpp v56, v142, v56 row_newbcast:4 row_mask:0xf bank_mask:0xf// 000000010B38: 0A7070FA FF01548E
	v_mul_f32_dpp v57, v142, v57 row_newbcast:5 row_mask:0xf bank_mask:0xf// 000000010B40: 0A7272FA FF01558E
	v_mul_f32_dpp v58, v142, v58 row_newbcast:6 row_mask:0xf bank_mask:0xf// 000000010B48: 0A7474FA FF01568E
	v_mul_f32_dpp v59, v142, v59 row_newbcast:7 row_mask:0xf bank_mask:0xf// 000000010B50: 0A7676FA FF01578E
	v_mul_f32_dpp v60, v142, v60 row_newbcast:8 row_mask:0xf bank_mask:0xf// 000000010B58: 0A7878FA FF01588E
	v_mul_f32_dpp v61, v142, v61 row_newbcast:9 row_mask:0xf bank_mask:0xf// 000000010B60: 0A7A7AFA FF01598E
	v_mul_f32_dpp v62, v142, v62 row_newbcast:10 row_mask:0xf bank_mask:0xf// 000000010B68: 0A7C7CFA FF015A8E
	v_mul_f32_dpp v63, v142, v63 row_newbcast:11 row_mask:0xf bank_mask:0xf// 000000010B70: 0A7E7EFA FF015B8E
	v_mul_f32_dpp v64, v142, v64 row_newbcast:12 row_mask:0xf bank_mask:0xf// 000000010B78: 0A8080FA FF015C8E
	v_mul_f32_dpp v65, v142, v65 row_newbcast:13 row_mask:0xf bank_mask:0xf// 000000010B80: 0A8282FA FF015D8E
	v_mul_f32_dpp v66, v142, v66 row_newbcast:14 row_mask:0xf bank_mask:0xf// 000000010B88: 0A8484FA FF015E8E
	v_mul_f32_dpp v67, v142, v67 row_newbcast:15 row_mask:0xf bank_mask:0xf// 000000010B90: 0A8686FA FF015F8E
	v_add_u32_e32 v196, s64, v215                              // 000000010B98: 6989AE40
	v_add_u32_e32 v197, 0, v196                                // 000000010B9C: 698B8880
	v_cmp_lt_u32_e32 vcc, v197, v211                           // 000000010BA0: 7D93A7C5
	v_cndmask_b32_e32 v4, 0, v4, vcc                           // 000000010BA4: 00080880
	v_cmp_lt_u32_e32 vcc, v197, v212                           // 000000010BA8: 7D93A9C5
	v_cndmask_b32_e32 v20, 0, v20, vcc                         // 000000010BAC: 00282880
	v_cmp_lt_u32_e32 vcc, v197, v213                           // 000000010BB0: 7D93ABC5
	v_cndmask_b32_e32 v36, 0, v36, vcc                         // 000000010BB4: 00484880
	v_cmp_lt_u32_e32 vcc, v197, v214                           // 000000010BB8: 7D93ADC5
	v_cndmask_b32_e32 v52, 0, v52, vcc                         // 000000010BBC: 00686880
	v_add_u32_e32 v197, 1, v196                                // 000000010BC0: 698B8881
	v_cmp_lt_u32_e32 vcc, v197, v211                           // 000000010BC4: 7D93A7C5
	v_cndmask_b32_e32 v5, 0, v5, vcc                           // 000000010BC8: 000A0A80
	v_cmp_lt_u32_e32 vcc, v197, v212                           // 000000010BCC: 7D93A9C5
	v_cndmask_b32_e32 v21, 0, v21, vcc                         // 000000010BD0: 002A2A80
	v_cmp_lt_u32_e32 vcc, v197, v213                           // 000000010BD4: 7D93ABC5
	v_cndmask_b32_e32 v37, 0, v37, vcc                         // 000000010BD8: 004A4A80
	v_cmp_lt_u32_e32 vcc, v197, v214                           // 000000010BDC: 7D93ADC5
	v_cndmask_b32_e32 v53, 0, v53, vcc                         // 000000010BE0: 006A6A80
	v_add_u32_e32 v197, 2, v196                                // 000000010BE4: 698B8882
	v_cmp_lt_u32_e32 vcc, v197, v211                           // 000000010BE8: 7D93A7C5
	v_cndmask_b32_e32 v6, 0, v6, vcc                           // 000000010BEC: 000C0C80
	v_cmp_lt_u32_e32 vcc, v197, v212                           // 000000010BF0: 7D93A9C5
	v_cndmask_b32_e32 v22, 0, v22, vcc                         // 000000010BF4: 002C2C80
	v_cmp_lt_u32_e32 vcc, v197, v213                           // 000000010BF8: 7D93ABC5
	v_cndmask_b32_e32 v38, 0, v38, vcc                         // 000000010BFC: 004C4C80
	v_cmp_lt_u32_e32 vcc, v197, v214                           // 000000010C00: 7D93ADC5
	v_cndmask_b32_e32 v54, 0, v54, vcc                         // 000000010C04: 006C6C80
	v_add_u32_e32 v197, 3, v196                                // 000000010C08: 698B8883
	v_cmp_lt_u32_e32 vcc, v197, v211                           // 000000010C0C: 7D93A7C5
	v_cndmask_b32_e32 v7, 0, v7, vcc                           // 000000010C10: 000E0E80
	v_cmp_lt_u32_e32 vcc, v197, v212                           // 000000010C14: 7D93A9C5
	v_cndmask_b32_e32 v23, 0, v23, vcc                         // 000000010C18: 002E2E80
	v_cmp_lt_u32_e32 vcc, v197, v213                           // 000000010C1C: 7D93ABC5
	v_cndmask_b32_e32 v39, 0, v39, vcc                         // 000000010C20: 004E4E80
	v_cmp_lt_u32_e32 vcc, v197, v214                           // 000000010C24: 7D93ADC5
	v_cndmask_b32_e32 v55, 0, v55, vcc                         // 000000010C28: 006E6E80
	v_add_u32_e32 v197, 64, v196                               // 000000010C2C: 698B88C0
	v_cmp_lt_u32_e32 vcc, v197, v211                           // 000000010C30: 7D93A7C5
	v_cndmask_b32_e32 v8, 0, v8, vcc                           // 000000010C34: 00101080
	v_cmp_lt_u32_e32 vcc, v197, v212                           // 000000010C38: 7D93A9C5
	v_cndmask_b32_e32 v24, 0, v24, vcc                         // 000000010C3C: 00303080
	v_cmp_lt_u32_e32 vcc, v197, v213                           // 000000010C40: 7D93ABC5
	v_cndmask_b32_e32 v40, 0, v40, vcc                         // 000000010C44: 00505080
	v_cmp_lt_u32_e32 vcc, v197, v214                           // 000000010C48: 7D93ADC5
	v_cndmask_b32_e32 v56, 0, v56, vcc                         // 000000010C4C: 00707080
	v_add_u32_e32 v197, 0x41, v196                             // 000000010C50: 698B88FF 00000041
	v_cmp_lt_u32_e32 vcc, v197, v211                           // 000000010C58: 7D93A7C5
	v_cndmask_b32_e32 v9, 0, v9, vcc                           // 000000010C5C: 00121280
	v_cmp_lt_u32_e32 vcc, v197, v212                           // 000000010C60: 7D93A9C5
	v_cndmask_b32_e32 v25, 0, v25, vcc                         // 000000010C64: 00323280
	v_cmp_lt_u32_e32 vcc, v197, v213                           // 000000010C68: 7D93ABC5
	v_cndmask_b32_e32 v41, 0, v41, vcc                         // 000000010C6C: 00525280
	v_cmp_lt_u32_e32 vcc, v197, v214                           // 000000010C70: 7D93ADC5
	v_cndmask_b32_e32 v57, 0, v57, vcc                         // 000000010C74: 00727280
	v_add_u32_e32 v197, 0x42, v196                             // 000000010C78: 698B88FF 00000042
	v_cmp_lt_u32_e32 vcc, v197, v211                           // 000000010C80: 7D93A7C5
	v_cndmask_b32_e32 v10, 0, v10, vcc                         // 000000010C84: 00141480
	v_cmp_lt_u32_e32 vcc, v197, v212                           // 000000010C88: 7D93A9C5
	v_cndmask_b32_e32 v26, 0, v26, vcc                         // 000000010C8C: 00343480
	v_cmp_lt_u32_e32 vcc, v197, v213                           // 000000010C90: 7D93ABC5
	v_cndmask_b32_e32 v42, 0, v42, vcc                         // 000000010C94: 00545480
	v_cmp_lt_u32_e32 vcc, v197, v214                           // 000000010C98: 7D93ADC5
	v_cndmask_b32_e32 v58, 0, v58, vcc                         // 000000010C9C: 00747480
	v_add_u32_e32 v197, 0x43, v196                             // 000000010CA0: 698B88FF 00000043
	v_cmp_lt_u32_e32 vcc, v197, v211                           // 000000010CA8: 7D93A7C5
	v_cndmask_b32_e32 v11, 0, v11, vcc                         // 000000010CAC: 00161680
	v_cmp_lt_u32_e32 vcc, v197, v212                           // 000000010CB0: 7D93A9C5
	v_cndmask_b32_e32 v27, 0, v27, vcc                         // 000000010CB4: 00363680
	v_cmp_lt_u32_e32 vcc, v197, v213                           // 000000010CB8: 7D93ABC5
	v_cndmask_b32_e32 v43, 0, v43, vcc                         // 000000010CBC: 00565680
	v_cmp_lt_u32_e32 vcc, v197, v214                           // 000000010CC0: 7D93ADC5
	v_cndmask_b32_e32 v59, 0, v59, vcc                         // 000000010CC4: 00767680
	v_add_u32_e32 v197, 0x80, v196                             // 000000010CC8: 698B88FF 00000080
	v_cmp_lt_u32_e32 vcc, v197, v211                           // 000000010CD0: 7D93A7C5
	v_cndmask_b32_e32 v12, 0, v12, vcc                         // 000000010CD4: 00181880
	v_cmp_lt_u32_e32 vcc, v197, v212                           // 000000010CD8: 7D93A9C5
	v_cndmask_b32_e32 v28, 0, v28, vcc                         // 000000010CDC: 00383880
	v_cmp_lt_u32_e32 vcc, v197, v213                           // 000000010CE0: 7D93ABC5
	v_cndmask_b32_e32 v44, 0, v44, vcc                         // 000000010CE4: 00585880
	v_cmp_lt_u32_e32 vcc, v197, v214                           // 000000010CE8: 7D93ADC5
	v_cndmask_b32_e32 v60, 0, v60, vcc                         // 000000010CEC: 00787880
	v_add_u32_e32 v197, 0x81, v196                             // 000000010CF0: 698B88FF 00000081
	v_cmp_lt_u32_e32 vcc, v197, v211                           // 000000010CF8: 7D93A7C5
	v_cndmask_b32_e32 v13, 0, v13, vcc                         // 000000010CFC: 001A1A80
	v_cmp_lt_u32_e32 vcc, v197, v212                           // 000000010D00: 7D93A9C5
	v_cndmask_b32_e32 v29, 0, v29, vcc                         // 000000010D04: 003A3A80
	v_cmp_lt_u32_e32 vcc, v197, v213                           // 000000010D08: 7D93ABC5
	v_cndmask_b32_e32 v45, 0, v45, vcc                         // 000000010D0C: 005A5A80
	v_cmp_lt_u32_e32 vcc, v197, v214                           // 000000010D10: 7D93ADC5
	v_cndmask_b32_e32 v61, 0, v61, vcc                         // 000000010D14: 007A7A80
	v_add_u32_e32 v197, 0x82, v196                             // 000000010D18: 698B88FF 00000082
	v_cmp_lt_u32_e32 vcc, v197, v211                           // 000000010D20: 7D93A7C5
	v_cndmask_b32_e32 v14, 0, v14, vcc                         // 000000010D24: 001C1C80
	v_cmp_lt_u32_e32 vcc, v197, v212                           // 000000010D28: 7D93A9C5
	v_cndmask_b32_e32 v30, 0, v30, vcc                         // 000000010D2C: 003C3C80
	v_cmp_lt_u32_e32 vcc, v197, v213                           // 000000010D30: 7D93ABC5
	v_cndmask_b32_e32 v46, 0, v46, vcc                         // 000000010D34: 005C5C80
	v_cmp_lt_u32_e32 vcc, v197, v214                           // 000000010D38: 7D93ADC5
	v_cndmask_b32_e32 v62, 0, v62, vcc                         // 000000010D3C: 007C7C80
	v_add_u32_e32 v197, 0x83, v196                             // 000000010D40: 698B88FF 00000083
	v_cmp_lt_u32_e32 vcc, v197, v211                           // 000000010D48: 7D93A7C5
	v_cndmask_b32_e32 v15, 0, v15, vcc                         // 000000010D4C: 001E1E80
	v_cmp_lt_u32_e32 vcc, v197, v212                           // 000000010D50: 7D93A9C5
	v_cndmask_b32_e32 v31, 0, v31, vcc                         // 000000010D54: 003E3E80
	v_cmp_lt_u32_e32 vcc, v197, v213                           // 000000010D58: 7D93ABC5
	v_cndmask_b32_e32 v47, 0, v47, vcc                         // 000000010D5C: 005E5E80
	v_cmp_lt_u32_e32 vcc, v197, v214                           // 000000010D60: 7D93ADC5
	v_cndmask_b32_e32 v63, 0, v63, vcc                         // 000000010D64: 007E7E80
	v_add_u32_e32 v197, 0xc0, v196                             // 000000010D68: 698B88FF 000000C0
	v_cmp_lt_u32_e32 vcc, v197, v211                           // 000000010D70: 7D93A7C5
	v_cndmask_b32_e32 v16, 0, v16, vcc                         // 000000010D74: 00202080
	v_cmp_lt_u32_e32 vcc, v197, v212                           // 000000010D78: 7D93A9C5
	v_cndmask_b32_e32 v32, 0, v32, vcc                         // 000000010D7C: 00404080
	v_cmp_lt_u32_e32 vcc, v197, v213                           // 000000010D80: 7D93ABC5
	v_cndmask_b32_e32 v48, 0, v48, vcc                         // 000000010D84: 00606080
	v_cmp_lt_u32_e32 vcc, v197, v214                           // 000000010D88: 7D93ADC5
	v_cndmask_b32_e32 v64, 0, v64, vcc                         // 000000010D8C: 00808080
	v_add_u32_e32 v197, 0xc1, v196                             // 000000010D90: 698B88FF 000000C1
	v_cmp_lt_u32_e32 vcc, v197, v211                           // 000000010D98: 7D93A7C5
	v_cndmask_b32_e32 v17, 0, v17, vcc                         // 000000010D9C: 00222280
	v_cmp_lt_u32_e32 vcc, v197, v212                           // 000000010DA0: 7D93A9C5
	v_cndmask_b32_e32 v33, 0, v33, vcc                         // 000000010DA4: 00424280
	v_cmp_lt_u32_e32 vcc, v197, v213                           // 000000010DA8: 7D93ABC5
	v_cndmask_b32_e32 v49, 0, v49, vcc                         // 000000010DAC: 00626280
	v_cmp_lt_u32_e32 vcc, v197, v214                           // 000000010DB0: 7D93ADC5
	v_cndmask_b32_e32 v65, 0, v65, vcc                         // 000000010DB4: 00828280
	v_add_u32_e32 v197, 0xc2, v196                             // 000000010DB8: 698B88FF 000000C2
	v_cmp_lt_u32_e32 vcc, v197, v211                           // 000000010DC0: 7D93A7C5
	v_cndmask_b32_e32 v18, 0, v18, vcc                         // 000000010DC4: 00242480
	v_cmp_lt_u32_e32 vcc, v197, v212                           // 000000010DC8: 7D93A9C5
	v_cndmask_b32_e32 v34, 0, v34, vcc                         // 000000010DCC: 00444480
	v_cmp_lt_u32_e32 vcc, v197, v213                           // 000000010DD0: 7D93ABC5
	v_cndmask_b32_e32 v50, 0, v50, vcc                         // 000000010DD4: 00646480
	v_cmp_lt_u32_e32 vcc, v197, v214                           // 000000010DD8: 7D93ADC5
	v_cndmask_b32_e32 v66, 0, v66, vcc                         // 000000010DDC: 00848480
	v_add_u32_e32 v197, 0xc3, v196                             // 000000010DE0: 698B88FF 000000C3
	v_cmp_lt_u32_e32 vcc, v197, v211                           // 000000010DE8: 7D93A7C5
	v_cndmask_b32_e32 v19, 0, v19, vcc                         // 000000010DEC: 00262680
	v_cmp_lt_u32_e32 vcc, v197, v212                           // 000000010DF0: 7D93A9C5
	v_cndmask_b32_e32 v35, 0, v35, vcc                         // 000000010DF4: 00464680
	v_cmp_lt_u32_e32 vcc, v197, v213                           // 000000010DF8: 7D93ABC5
	v_cndmask_b32_e32 v51, 0, v51, vcc                         // 000000010DFC: 00666680
	v_cmp_lt_u32_e32 vcc, v197, v214                           // 000000010E00: 7D93ADC5
	v_cndmask_b32_e32 v67, 0, v67, vcc                         // 000000010E04: 00868680
	v_mov_b32_e32 v176, 0x358637bd                             // 000000010E08: 7F6002FF 358637BD
	v_max3_f32 v176, |v4|, |v5|, v176                          // 000000010E10: D1D303B0 06C20B04
	v_max3_f32 v176, |v6|, |v7|, v176                          // 000000010E18: D1D303B0 06C20F06
	v_max3_f32 v176, |v8|, |v9|, v176                          // 000000010E20: D1D303B0 06C21308
	v_max3_f32 v176, |v10|, |v11|, v176                        // 000000010E28: D1D303B0 06C2170A
	v_max3_f32 v176, |v12|, |v13|, v176                        // 000000010E30: D1D303B0 06C21B0C
	v_max3_f32 v176, |v14|, |v15|, v176                        // 000000010E38: D1D303B0 06C21F0E
	v_max3_f32 v176, |v16|, |v17|, v176                        // 000000010E40: D1D303B0 06C22310
	v_max3_f32 v176, |v18|, |v19|, v176                        // 000000010E48: D1D303B0 06C22712
	v_mov_b32_e32 v177, 0x358637bd                             // 000000010E50: 7F6202FF 358637BD
	v_max3_f32 v177, |v20|, |v21|, v177                        // 000000010E58: D1D303B1 06C62B14
	v_max3_f32 v177, |v22|, |v23|, v177                        // 000000010E60: D1D303B1 06C62F16
	v_max3_f32 v177, |v24|, |v25|, v177                        // 000000010E68: D1D303B1 06C63318
	v_max3_f32 v177, |v26|, |v27|, v177                        // 000000010E70: D1D303B1 06C6371A
	v_max3_f32 v177, |v28|, |v29|, v177                        // 000000010E78: D1D303B1 06C63B1C
	v_max3_f32 v177, |v30|, |v31|, v177                        // 000000010E80: D1D303B1 06C63F1E
	v_max3_f32 v177, |v32|, |v33|, v177                        // 000000010E88: D1D303B1 06C64320
	v_max3_f32 v177, |v34|, |v35|, v177                        // 000000010E90: D1D303B1 06C64722
	v_mov_b32_e32 v178, 0x358637bd                             // 000000010E98: 7F6402FF 358637BD
	v_max3_f32 v178, |v36|, |v37|, v178                        // 000000010EA0: D1D303B2 06CA4B24
	v_max3_f32 v178, |v38|, |v39|, v178                        // 000000010EA8: D1D303B2 06CA4F26
	v_max3_f32 v178, |v40|, |v41|, v178                        // 000000010EB0: D1D303B2 06CA5328
	v_max3_f32 v178, |v42|, |v43|, v178                        // 000000010EB8: D1D303B2 06CA572A
	v_max3_f32 v178, |v44|, |v45|, v178                        // 000000010EC0: D1D303B2 06CA5B2C
	v_max3_f32 v178, |v46|, |v47|, v178                        // 000000010EC8: D1D303B2 06CA5F2E
	v_max3_f32 v178, |v48|, |v49|, v178                        // 000000010ED0: D1D303B2 06CA6330
	v_max3_f32 v178, |v50|, |v51|, v178                        // 000000010ED8: D1D303B2 06CA6732
	v_mov_b32_e32 v179, 0x358637bd                             // 000000010EE0: 7F6602FF 358637BD
	v_max3_f32 v179, |v52|, |v53|, v179                        // 000000010EE8: D1D303B3 06CE6B34
	v_max3_f32 v179, |v54|, |v55|, v179                        // 000000010EF0: D1D303B3 06CE6F36
	v_max3_f32 v179, |v56|, |v57|, v179                        // 000000010EF8: D1D303B3 06CE7338
	v_max3_f32 v179, |v58|, |v59|, v179                        // 000000010F00: D1D303B3 06CE773A
	v_max3_f32 v179, |v60|, |v61|, v179                        // 000000010F08: D1D303B3 06CE7B3C
	v_max3_f32 v179, |v62|, |v63|, v179                        // 000000010F10: D1D303B3 06CE7F3E
	v_max3_f32 v179, |v64|, |v65|, v179                        // 000000010F18: D1D303B3 06CE8340
	v_max3_f32 v179, |v66|, |v67|, v179                        // 000000010F20: D1D303B3 06CE8742
	ds_bpermute_b32 v180, v200, v176                           // 000000010F28: D87E0000 B400B0C8
	ds_bpermute_b32 v181, v201, v176                           // 000000010F30: D87E0000 B500B0C9
	ds_bpermute_b32 v182, v202, v176                           // 000000010F38: D87E0000 B600B0CA
	ds_bpermute_b32 v183, v200, v177                           // 000000010F40: D87E0000 B700B1C8
	ds_bpermute_b32 v184, v201, v177                           // 000000010F48: D87E0000 B800B1C9
	ds_bpermute_b32 v185, v202, v177                           // 000000010F50: D87E0000 B900B1CA
	ds_bpermute_b32 v186, v200, v178                           // 000000010F58: D87E0000 BA00B2C8
	ds_bpermute_b32 v187, v201, v178                           // 000000010F60: D87E0000 BB00B2C9
	ds_bpermute_b32 v188, v202, v178                           // 000000010F68: D87E0000 BC00B2CA
	ds_bpermute_b32 v189, v200, v179                           // 000000010F70: D87E0000 BD00B3C8
	ds_bpermute_b32 v190, v201, v179                           // 000000010F78: D87E0000 BE00B3C9
	ds_bpermute_b32 v191, v202, v179                           // 000000010F80: D87E0000 BF00B3CA
	s_waitcnt lgkmcnt(9)                                       // 000000010F88: BF8CC97F
	v_max3_f32 v176, v180, v181, v176                          // 000000010F8C: D1D300B0 06C36BB4
	v_max_f32_e32 v176, v182, v176                             // 000000010F94: 176161B6
	s_waitcnt lgkmcnt(6)                                       // 000000010F98: BF8CC67F
	v_max3_f32 v177, v183, v184, v177                          // 000000010F9C: D1D300B1 06C771B7
	v_max_f32_e32 v177, v185, v177                             // 000000010FA4: 176363B9
	s_waitcnt lgkmcnt(3)                                       // 000000010FA8: BF8CC37F
	v_max3_f32 v178, v186, v187, v178                          // 000000010FAC: D1D300B2 06CB77BA
	v_max_f32_e32 v178, v188, v178                             // 000000010FB4: 176565BC
	s_waitcnt lgkmcnt(0)                                       // 000000010FB8: BF8CC07F
	v_max3_f32 v179, v189, v190, v179                          // 000000010FBC: D1D300B3 06CF7DBD
	v_max_f32_e32 v179, v191, v179                             // 000000010FC4: 176767BF
	ds_write_b128 v247, v[176:179] offset:4096                 // 000000010FC8: D9BE1000 0000B0F7
	buffer_load_dword v141, v231, s[20:23], 0 offen            // 000000010FD0: E0501000 80058DE7
	s_waitcnt lgkmcnt(0)                                       // 000000010FD8: BF8CC07F
	s_barrier                                                  // 000000010FDC: BF8A0000
	buffer_load_dword v143, v232, s[24:27], 0 offen            // 000000010FE0: E0501000 80068FE8
	ds_read_b128 v[180:183], v248 offset:4096                  // 000000010FE8: D9FE1000 B40000F8
	ds_read_b128 v[184:187], v248 offset:4352                  // 000000010FF0: D9FE1100 B80000F8
	ds_read_b128 v[188:191], v248 offset:4608                  // 000000010FF8: D9FE1200 BC0000F8
	ds_read_b128 v[192:195], v248 offset:4864                  // 000000011000: D9FE1300 C00000F8
	s_waitcnt lgkmcnt(0)                                       // 000000011008: BF8CC07F
	v_max3_f32 v176, v180, v184, v176                          // 00000001100C: D1D300B0 06C371B4
	v_max3_f32 v177, v181, v185, v177                          // 000000011014: D1D300B1 06C773B5
	v_max3_f32 v178, v182, v186, v178                          // 00000001101C: D1D300B2 06CB75B6
	v_max3_f32 v179, v183, v187, v179                          // 000000011024: D1D300B3 06CF77B7
	v_max3_f32 v176, v188, v192, v176                          // 00000001102C: D1D300B0 06C381BC
	v_max3_f32 v177, v189, v193, v177                          // 000000011034: D1D300B1 06C783BD
	v_max3_f32 v178, v190, v194, v178                          // 00000001103C: D1D300B2 06CB85BE
	v_max3_f32 v179, v191, v195, v179                          // 000000011044: D1D300B3 06CF87BF
	v_rcp_f32_e32 v176, v176                                   // 00000001104C: 7F6045B0
	v_rcp_f32_e32 v177, v177                                   // 000000011050: 7F6245B1
	v_rcp_f32_e32 v178, v178                                   // 000000011054: 7F6445B2
	v_rcp_f32_e32 v179, v179                                   // 000000011058: 7F6645B3
	v_mul_f32_e32 v176, 0x43700000, v176                       // 00000001105C: 0B6160FF 43700000
	v_mul_f32_e32 v177, 0x43700000, v177                       // 000000011064: 0B6362FF 43700000
	v_mul_f32_e32 v178, 0x43700000, v178                       // 00000001106C: 0B6564FF 43700000
	v_mul_f32_e32 v179, 0x43700000, v179                       // 000000011074: 0B6766FF 43700000
	v_mul_f32_e32 v4, v176, v4                                 // 00000001107C: 0A0809B0
	v_mul_f32_e32 v5, v176, v5                                 // 000000011080: 0A0A0BB0
	v_mul_f32_e32 v6, v176, v6                                 // 000000011084: 0A0C0DB0
	v_mul_f32_e32 v7, v176, v7                                 // 000000011088: 0A0E0FB0
	v_mul_f32_e32 v8, v176, v8                                 // 00000001108C: 0A1011B0
	v_mul_f32_e32 v9, v176, v9                                 // 000000011090: 0A1213B0
	v_mul_f32_e32 v10, v176, v10                               // 000000011094: 0A1415B0
	v_mul_f32_e32 v11, v176, v11                               // 000000011098: 0A1617B0
	v_mul_f32_e32 v12, v176, v12                               // 00000001109C: 0A1819B0
	v_mul_f32_e32 v13, v176, v13                               // 0000000110A0: 0A1A1BB0
	v_mul_f32_e32 v14, v176, v14                               // 0000000110A4: 0A1C1DB0
	v_mul_f32_e32 v15, v176, v15                               // 0000000110A8: 0A1E1FB0
	v_mul_f32_e32 v16, v176, v16                               // 0000000110AC: 0A2021B0
	v_mul_f32_e32 v17, v176, v17                               // 0000000110B0: 0A2223B0
	v_mul_f32_e32 v18, v176, v18                               // 0000000110B4: 0A2425B0
	v_mul_f32_e32 v19, v176, v19                               // 0000000110B8: 0A2627B0
	v_mul_f32_e32 v20, v177, v20                               // 0000000110BC: 0A2829B1
	v_mul_f32_e32 v21, v177, v21                               // 0000000110C0: 0A2A2BB1
	v_mul_f32_e32 v22, v177, v22                               // 0000000110C4: 0A2C2DB1
	v_mul_f32_e32 v23, v177, v23                               // 0000000110C8: 0A2E2FB1
	v_mul_f32_e32 v24, v177, v24                               // 0000000110CC: 0A3031B1
	v_mul_f32_e32 v25, v177, v25                               // 0000000110D0: 0A3233B1
	v_mul_f32_e32 v26, v177, v26                               // 0000000110D4: 0A3435B1
	v_mul_f32_e32 v27, v177, v27                               // 0000000110D8: 0A3637B1
	v_mul_f32_e32 v28, v177, v28                               // 0000000110DC: 0A3839B1
	v_mul_f32_e32 v29, v177, v29                               // 0000000110E0: 0A3A3BB1
	v_mul_f32_e32 v30, v177, v30                               // 0000000110E4: 0A3C3DB1
	v_mul_f32_e32 v31, v177, v31                               // 0000000110E8: 0A3E3FB1
	v_mul_f32_e32 v32, v177, v32                               // 0000000110EC: 0A4041B1
	v_mul_f32_e32 v33, v177, v33                               // 0000000110F0: 0A4243B1
	v_mul_f32_e32 v34, v177, v34                               // 0000000110F4: 0A4445B1
	v_mul_f32_e32 v35, v177, v35                               // 0000000110F8: 0A4647B1
	v_mul_f32_e32 v36, v178, v36                               // 0000000110FC: 0A4849B2
	v_mul_f32_e32 v37, v178, v37                               // 000000011100: 0A4A4BB2
	v_mul_f32_e32 v38, v178, v38                               // 000000011104: 0A4C4DB2
	v_mul_f32_e32 v39, v178, v39                               // 000000011108: 0A4E4FB2
	v_mul_f32_e32 v40, v178, v40                               // 00000001110C: 0A5051B2
	v_mul_f32_e32 v41, v178, v41                               // 000000011110: 0A5253B2
	v_mul_f32_e32 v42, v178, v42                               // 000000011114: 0A5455B2
	v_mul_f32_e32 v43, v178, v43                               // 000000011118: 0A5657B2
	v_mul_f32_e32 v44, v178, v44                               // 00000001111C: 0A5859B2
	v_mul_f32_e32 v45, v178, v45                               // 000000011120: 0A5A5BB2
	v_mul_f32_e32 v46, v178, v46                               // 000000011124: 0A5C5DB2
	v_mul_f32_e32 v47, v178, v47                               // 000000011128: 0A5E5FB2
	v_mul_f32_e32 v48, v178, v48                               // 00000001112C: 0A6061B2
	v_mul_f32_e32 v49, v178, v49                               // 000000011130: 0A6263B2
	v_mul_f32_e32 v50, v178, v50                               // 000000011134: 0A6465B2
	v_mul_f32_e32 v51, v178, v51                               // 000000011138: 0A6667B2
	v_mul_f32_e32 v52, v179, v52                               // 00000001113C: 0A6869B3
	v_mul_f32_e32 v53, v179, v53                               // 000000011140: 0A6A6BB3
	v_mul_f32_e32 v54, v179, v54                               // 000000011144: 0A6C6DB3
	v_mul_f32_e32 v55, v179, v55                               // 000000011148: 0A6E6FB3
	v_mul_f32_e32 v56, v179, v56                               // 00000001114C: 0A7071B3
	v_mul_f32_e32 v57, v179, v57                               // 000000011150: 0A7273B3
	v_mul_f32_e32 v58, v179, v58                               // 000000011154: 0A7475B3
	v_mul_f32_e32 v59, v179, v59                               // 000000011158: 0A7677B3
	v_mul_f32_e32 v60, v179, v60                               // 00000001115C: 0A7879B3
	v_mul_f32_e32 v61, v179, v61                               // 000000011160: 0A7A7BB3
	v_mul_f32_e32 v62, v179, v62                               // 000000011164: 0A7C7DB3
	v_mul_f32_e32 v63, v179, v63                               // 000000011168: 0A7E7FB3
	v_mul_f32_e32 v64, v179, v64                               // 00000001116C: 0A8081B3
	v_mul_f32_e32 v65, v179, v65                               // 000000011170: 0A8283B3
	v_mul_f32_e32 v66, v179, v66                               // 000000011174: 0A8485B3
	v_mul_f32_e32 v67, v179, v67                               // 000000011178: 0A8687B3
	v_cvt_pk_fp8_f32 v4, v4, v5                                // 00000001117C: D2A20004 00020B04
	v_cvt_pk_fp8_f32 v4, v6, v7 op_sel:[0,0,1]                 // 000000011184: D2A24004 00020F06
	v_cvt_pk_fp8_f32 v5, v8, v9                                // 00000001118C: D2A20005 00021308
	v_cvt_pk_fp8_f32 v5, v10, v11 op_sel:[0,0,1]               // 000000011194: D2A24005 0002170A
	v_cvt_pk_fp8_f32 v6, v12, v13                              // 00000001119C: D2A20006 00021B0C
	v_cvt_pk_fp8_f32 v6, v14, v15 op_sel:[0,0,1]               // 0000000111A4: D2A24006 00021F0E
	v_cvt_pk_fp8_f32 v7, v16, v17                              // 0000000111AC: D2A20007 00022310
	v_cvt_pk_fp8_f32 v7, v18, v19 op_sel:[0,0,1]               // 0000000111B4: D2A24007 00022712
	v_cvt_pk_fp8_f32 v8, v20, v21                              // 0000000111BC: D2A20008 00022B14
	v_cvt_pk_fp8_f32 v8, v22, v23 op_sel:[0,0,1]               // 0000000111C4: D2A24008 00022F16
	v_cvt_pk_fp8_f32 v9, v24, v25                              // 0000000111CC: D2A20009 00023318
	v_cvt_pk_fp8_f32 v9, v26, v27 op_sel:[0,0,1]               // 0000000111D4: D2A24009 0002371A
	v_cvt_pk_fp8_f32 v10, v28, v29                             // 0000000111DC: D2A2000A 00023B1C
	v_cvt_pk_fp8_f32 v10, v30, v31 op_sel:[0,0,1]              // 0000000111E4: D2A2400A 00023F1E
	v_cvt_pk_fp8_f32 v11, v32, v33                             // 0000000111EC: D2A2000B 00024320
	v_cvt_pk_fp8_f32 v11, v34, v35 op_sel:[0,0,1]              // 0000000111F4: D2A2400B 00024722
	v_cvt_pk_fp8_f32 v12, v36, v37                             // 0000000111FC: D2A2000C 00024B24
	v_cvt_pk_fp8_f32 v12, v38, v39 op_sel:[0,0,1]              // 000000011204: D2A2400C 00024F26
	v_cvt_pk_fp8_f32 v13, v40, v41                             // 00000001120C: D2A2000D 00025328
	v_cvt_pk_fp8_f32 v13, v42, v43 op_sel:[0,0,1]              // 000000011214: D2A2400D 0002572A
	v_cvt_pk_fp8_f32 v14, v44, v45                             // 00000001121C: D2A2000E 00025B2C
	v_cvt_pk_fp8_f32 v14, v46, v47 op_sel:[0,0,1]              // 000000011224: D2A2400E 00025F2E
	v_cvt_pk_fp8_f32 v15, v48, v49                             // 00000001122C: D2A2000F 00026330
	v_cvt_pk_fp8_f32 v15, v50, v51 op_sel:[0,0,1]              // 000000011234: D2A2400F 00026732
	v_cvt_pk_fp8_f32 v16, v52, v53                             // 00000001123C: D2A20010 00026B34
	v_cvt_pk_fp8_f32 v16, v54, v55 op_sel:[0,0,1]              // 000000011244: D2A24010 00026F36
	v_cvt_pk_fp8_f32 v17, v56, v57                             // 00000001124C: D2A20011 00027338
	v_cvt_pk_fp8_f32 v17, v58, v59 op_sel:[0,0,1]              // 000000011254: D2A24011 0002773A
	v_cvt_pk_fp8_f32 v18, v60, v61                             // 00000001125C: D2A20012 00027B3C
	v_cvt_pk_fp8_f32 v18, v62, v63 op_sel:[0,0,1]              // 000000011264: D2A24012 00027F3E
	v_cvt_pk_fp8_f32 v19, v64, v65                             // 00000001126C: D2A20013 00028340
	v_cvt_pk_fp8_f32 v19, v66, v67 op_sel:[0,0,1]              // 000000011274: D2A24013 00028742
	ds_write_b32 v249, v4 offset:8192                          // 00000001127C: D81A2000 000004F9
	ds_write_b32 v249, v5 offset:9216                          // 000000011284: D81A2400 000005F9
	ds_write_b32 v249, v6 offset:10240                         // 00000001128C: D81A2800 000006F9
	ds_write_b32 v249, v7 offset:11264                         // 000000011294: D81A2C00 000007F9
	ds_write_b32 v249, v8 offset:12288                         // 00000001129C: D81A3000 000008F9
	ds_write_b32 v249, v9 offset:13312                         // 0000000112A4: D81A3400 000009F9
	ds_write_b32 v249, v10 offset:14336                        // 0000000112AC: D81A3800 00000AF9
	ds_write_b32 v249, v11 offset:15360                        // 0000000112B4: D81A3C00 00000BF9
	ds_write_b32 v249, v12 offset:16384                        // 0000000112BC: D81A4000 00000CF9
	ds_write_b32 v249, v13 offset:17408                        // 0000000112C4: D81A4400 00000DF9
	ds_write_b32 v249, v14 offset:18432                        // 0000000112CC: D81A4800 00000EF9
	ds_write_b32 v249, v15 offset:19456                        // 0000000112D4: D81A4C00 00000FF9
	ds_write_b32 v249, v16 offset:20480                        // 0000000112DC: D81A5000 000010F9
	ds_write_b32 v249, v17 offset:21504                        // 0000000112E4: D81A5400 000011F9
	ds_write_b32 v249, v18 offset:22528                        // 0000000112EC: D81A5800 000012F9
	ds_write_b32 v249, v19 offset:23552                        // 0000000112F4: D81A5C00 000013F9
	v_rcp_f32_e32 v144, v176                                   // 0000000112FC: 7F2045B0
	v_rcp_f32_e32 v146, v177                                   // 000000011300: 7F2445B1
	v_rcp_f32_e32 v148, v178                                   // 000000011304: 7F2845B2
	v_rcp_f32_e32 v150, v179                                   // 000000011308: 7F2C45B3
	v_mov_b32_e32 v145, v144                                   // 00000001130C: 7F220390
	v_mov_b32_e32 v147, v146                                   // 000000011310: 7F260392
	v_mov_b32_e32 v149, v148                                   // 000000011314: 7F2A0394
	v_mov_b32_e32 v151, v150                                   // 000000011318: 7F2E0396
	v_pk_add_f32 v[100:101], v[100:101], v[68:69]              // 00000001131C: D3B24064 18028964
	v_pk_add_f32 v[102:103], v[102:103], v[70:71]              // 000000011324: D3B24066 18028D66
	v_pk_add_f32 v[104:105], v[104:105], v[72:73]              // 00000001132C: D3B24068 18029168
	v_pk_add_f32 v[106:107], v[106:107], v[74:75]              // 000000011334: D3B2406A 1802956A
	v_pk_add_f32 v[108:109], v[108:109], v[76:77]              // 00000001133C: D3B2406C 1802996C
	v_pk_add_f32 v[110:111], v[110:111], v[78:79]              // 000000011344: D3B2406E 18029D6E
	v_pk_add_f32 v[112:113], v[112:113], v[80:81]              // 00000001134C: D3B24070 1802A170
	v_pk_add_f32 v[114:115], v[114:115], v[82:83]              // 000000011354: D3B24072 1802A572
	v_pk_add_f32 v[116:117], v[116:117], v[84:85]              // 00000001135C: D3B24074 1802A974
	v_pk_add_f32 v[118:119], v[118:119], v[86:87]              // 000000011364: D3B24076 1802AD76
	v_pk_add_f32 v[120:121], v[120:121], v[88:89]              // 00000001136C: D3B24078 1802B178
	v_pk_add_f32 v[122:123], v[122:123], v[90:91]              // 000000011374: D3B2407A 1802B57A
	v_pk_add_f32 v[124:125], v[124:125], v[92:93]              // 00000001137C: D3B2407C 1802B97C
	v_pk_add_f32 v[126:127], v[126:127], v[94:95]              // 000000011384: D3B2407E 1802BD7E
	v_pk_add_f32 v[128:129], v[128:129], v[96:97]              // 00000001138C: D3B24080 1802C180
	v_pk_add_f32 v[130:131], v[130:131], v[98:99]              // 000000011394: D3B24082 1802C582
	s_waitcnt lgkmcnt(0)                                       // 00000001139C: BF8CC07F
	s_barrier                                                  // 0000000113A0: BF8A0000
	ds_read_b128 v[4:7], v250 offset:8192                      // 0000000113A4: D9FE2000 040000FA
	ds_read_b128 v[8:11], v250 offset:9216                     // 0000000113AC: D9FE2400 080000FA
	ds_read_b128 v[12:15], v250 offset:10240                   // 0000000113B4: D9FE2800 0C0000FA
	ds_read_b128 v[16:19], v250 offset:11264                   // 0000000113BC: D9FE2C00 100000FA
	ds_read_b128 v[20:23], v250 offset:12288                   // 0000000113C4: D9FE3000 140000FA
	ds_read_b128 v[24:27], v250 offset:13312                   // 0000000113CC: D9FE3400 180000FA
	ds_read_b128 v[28:31], v250 offset:14336                   // 0000000113D4: D9FE3800 1C0000FA
	ds_read_b128 v[32:35], v250 offset:15360                   // 0000000113DC: D9FE3C00 200000FA
	ds_read_b128 v[36:39], v250 offset:16384                   // 0000000113E4: D9FE4000 240000FA
	ds_read_b128 v[40:43], v250 offset:17408                   // 0000000113EC: D9FE4400 280000FA
	ds_read_b128 v[44:47], v250 offset:18432                   // 0000000113F4: D9FE4800 2C0000FA
	ds_read_b128 v[48:51], v250 offset:19456                   // 0000000113FC: D9FE4C00 300000FA
	ds_read_b128 v[52:55], v250 offset:20480                   // 000000011404: D9FE5000 340000FA
	ds_read_b128 v[56:59], v250 offset:21504                   // 00000001140C: D9FE5400 380000FA
	ds_read_b128 v[60:63], v250 offset:22528                   // 000000011414: D9FE5800 3C0000FA
	ds_read_b128 v[64:67], v250 offset:23552                   // 00000001141C: D9FE5C00 400000FA
	s_waitcnt vmcnt(10)                                        // 000000011424: BF8C0F7A
	v_lshrrev_b32_e32 v203, 4, v0                              // 000000011428: 21960084
	v_lshlrev_b32_e32 v203, 4, v203                            // 00000001142C: 25979684
	v_add_u32_e32 v196, s64, v203                              // 000000011430: 69899640
	v_add_u32_e32 v196, 4, v196                                // 000000011434: 69898884
	v_sub_i32 v196, v196, s62                                  // 000000011438: D29D00C4 00007DC4
	s_mov_b32 s54, 0                                           // 000000011440: BEB60080
	v_add_i32 v197, s54, v196                                  // 000000011444: D29C00C5 00038836
	v_cmp_lt_i32_e64 vcc, v197, 4                              // 00000001144C: D0C1006A 000109C5
	v_min_u32_e32 v197, 4, v197                                // 000000011454: 1D8B8A84
	v_lshlrev_b32_e32 v197, 3, v197                            // 000000011458: 258B8A83
	v_lshrrev_b32_e64 v198, v197, -1                           // 00000001145C: D11000C6 000183C5
	v_accvgpr_read_b32 v199, a96                               // 000000011464: D3D840C7 18000160
	v_cndmask_b32_e32 v199, 0, v199, vcc                       // 00000001146C: 018F8E80
	v_and_b32_e32 v199, v199, v198                             // 000000011470: 278F8DC7
	v_accvgpr_write_b32 a96, v199                              // 000000011474: D3D94060 180001C7
	v_accvgpr_read_b32 v199, a112                              // 00000001147C: D3D840C7 18000170
	v_cndmask_b32_e32 v199, 0, v199, vcc                       // 000000011484: 018F8E80
	v_and_b32_e32 v199, v199, v198                             // 000000011488: 278F8DC7
	v_accvgpr_write_b32 a112, v199                             // 00000001148C: D3D94070 180001C7
	s_mov_b32 s54, 4                                           // 000000011494: BEB60084
	v_add_i32 v197, s54, v196                                  // 000000011498: D29C00C5 00038836
	v_cmp_lt_i32_e64 vcc, v197, 4                              // 0000000114A0: D0C1006A 000109C5
	v_min_u32_e32 v197, 4, v197                                // 0000000114A8: 1D8B8A84
	v_lshlrev_b32_e32 v197, 3, v197                            // 0000000114AC: 258B8A83
	v_lshrrev_b32_e64 v198, v197, -1                           // 0000000114B0: D11000C6 000183C5
	v_accvgpr_read_b32 v199, a97                               // 0000000114B8: D3D840C7 18000161
	v_cndmask_b32_e32 v199, 0, v199, vcc                       // 0000000114C0: 018F8E80
	v_and_b32_e32 v199, v199, v198                             // 0000000114C4: 278F8DC7
	v_accvgpr_write_b32 a97, v199                              // 0000000114C8: D3D94061 180001C7
	v_accvgpr_read_b32 v199, a113                              // 0000000114D0: D3D840C7 18000171
	v_cndmask_b32_e32 v199, 0, v199, vcc                       // 0000000114D8: 018F8E80
	v_and_b32_e32 v199, v199, v198                             // 0000000114DC: 278F8DC7
	v_accvgpr_write_b32 a113, v199                             // 0000000114E0: D3D94071 180001C7
	s_mov_b32 s54, 8                                           // 0000000114E8: BEB60088
	v_add_i32 v197, s54, v196                                  // 0000000114EC: D29C00C5 00038836
	v_cmp_lt_i32_e64 vcc, v197, 4                              // 0000000114F4: D0C1006A 000109C5
	v_min_u32_e32 v197, 4, v197                                // 0000000114FC: 1D8B8A84
	v_lshlrev_b32_e32 v197, 3, v197                            // 000000011500: 258B8A83
	v_lshrrev_b32_e64 v198, v197, -1                           // 000000011504: D11000C6 000183C5
	v_accvgpr_read_b32 v199, a98                               // 00000001150C: D3D840C7 18000162
	v_cndmask_b32_e32 v199, 0, v199, vcc                       // 000000011514: 018F8E80
	v_and_b32_e32 v199, v199, v198                             // 000000011518: 278F8DC7
	v_accvgpr_write_b32 a98, v199                              // 00000001151C: D3D94062 180001C7
	v_accvgpr_read_b32 v199, a114                              // 000000011524: D3D840C7 18000172
	v_cndmask_b32_e32 v199, 0, v199, vcc                       // 00000001152C: 018F8E80
	v_and_b32_e32 v199, v199, v198                             // 000000011530: 278F8DC7
	v_accvgpr_write_b32 a114, v199                             // 000000011534: D3D94072 180001C7
	s_mov_b32 s54, 12                                          // 00000001153C: BEB6008C
	v_add_i32 v197, s54, v196                                  // 000000011540: D29C00C5 00038836
	v_cmp_lt_i32_e64 vcc, v197, 4                              // 000000011548: D0C1006A 000109C5
	v_min_u32_e32 v197, 4, v197                                // 000000011550: 1D8B8A84
	v_lshlrev_b32_e32 v197, 3, v197                            // 000000011554: 258B8A83
	v_lshrrev_b32_e64 v198, v197, -1                           // 000000011558: D11000C6 000183C5
	v_accvgpr_read_b32 v199, a99                               // 000000011560: D3D840C7 18000163
	v_cndmask_b32_e32 v199, 0, v199, vcc                       // 000000011568: 018F8E80
	v_and_b32_e32 v199, v199, v198                             // 00000001156C: 278F8DC7
	v_accvgpr_write_b32 a99, v199                              // 000000011570: D3D94063 180001C7
	v_accvgpr_read_b32 v199, a115                              // 000000011578: D3D840C7 18000173
	v_cndmask_b32_e32 v199, 0, v199, vcc                       // 000000011580: 018F8E80
	v_and_b32_e32 v199, v199, v198                             // 000000011584: 278F8DC7
	v_accvgpr_write_b32 a115, v199                             // 000000011588: D3D94073 180001C7
	s_mov_b32 s54, 64                                          // 000000011590: BEB600C0
	v_add_i32 v197, s54, v196                                  // 000000011594: D29C00C5 00038836
	v_cmp_lt_i32_e64 vcc, v197, 4                              // 00000001159C: D0C1006A 000109C5
	v_min_u32_e32 v197, 4, v197                                // 0000000115A4: 1D8B8A84
	v_lshlrev_b32_e32 v197, 3, v197                            // 0000000115A8: 258B8A83
	v_lshrrev_b32_e64 v198, v197, -1                           // 0000000115AC: D11000C6 000183C5
	v_accvgpr_read_b32 v199, a100                              // 0000000115B4: D3D840C7 18000164
	v_cndmask_b32_e32 v199, 0, v199, vcc                       // 0000000115BC: 018F8E80
	v_and_b32_e32 v199, v199, v198                             // 0000000115C0: 278F8DC7
	v_accvgpr_write_b32 a100, v199                             // 0000000115C4: D3D94064 180001C7
	v_accvgpr_read_b32 v199, a116                              // 0000000115CC: D3D840C7 18000174
	v_cndmask_b32_e32 v199, 0, v199, vcc                       // 0000000115D4: 018F8E80
	v_and_b32_e32 v199, v199, v198                             // 0000000115D8: 278F8DC7
	v_accvgpr_write_b32 a116, v199                             // 0000000115DC: D3D94074 180001C7
	s_mov_b32 s54, 0x44                                        // 0000000115E4: BEB600FF 00000044
	v_add_i32 v197, s54, v196                                  // 0000000115EC: D29C00C5 00038836
	v_cmp_lt_i32_e64 vcc, v197, 4                              // 0000000115F4: D0C1006A 000109C5
	v_min_u32_e32 v197, 4, v197                                // 0000000115FC: 1D8B8A84
	v_lshlrev_b32_e32 v197, 3, v197                            // 000000011600: 258B8A83
	v_lshrrev_b32_e64 v198, v197, -1                           // 000000011604: D11000C6 000183C5
	v_accvgpr_read_b32 v199, a101                              // 00000001160C: D3D840C7 18000165
	v_cndmask_b32_e32 v199, 0, v199, vcc                       // 000000011614: 018F8E80
	v_and_b32_e32 v199, v199, v198                             // 000000011618: 278F8DC7
	v_accvgpr_write_b32 a101, v199                             // 00000001161C: D3D94065 180001C7
	v_accvgpr_read_b32 v199, a117                              // 000000011624: D3D840C7 18000175
	v_cndmask_b32_e32 v199, 0, v199, vcc                       // 00000001162C: 018F8E80
	v_and_b32_e32 v199, v199, v198                             // 000000011630: 278F8DC7
	v_accvgpr_write_b32 a117, v199                             // 000000011634: D3D94075 180001C7
	s_mov_b32 s54, 0x48                                        // 00000001163C: BEB600FF 00000048
	v_add_i32 v197, s54, v196                                  // 000000011644: D29C00C5 00038836
	v_cmp_lt_i32_e64 vcc, v197, 4                              // 00000001164C: D0C1006A 000109C5
	v_min_u32_e32 v197, 4, v197                                // 000000011654: 1D8B8A84
	v_lshlrev_b32_e32 v197, 3, v197                            // 000000011658: 258B8A83
	v_lshrrev_b32_e64 v198, v197, -1                           // 00000001165C: D11000C6 000183C5
	v_accvgpr_read_b32 v199, a102                              // 000000011664: D3D840C7 18000166
	v_cndmask_b32_e32 v199, 0, v199, vcc                       // 00000001166C: 018F8E80
	v_and_b32_e32 v199, v199, v198                             // 000000011670: 278F8DC7
	v_accvgpr_write_b32 a102, v199                             // 000000011674: D3D94066 180001C7
	v_accvgpr_read_b32 v199, a118                              // 00000001167C: D3D840C7 18000176
	v_cndmask_b32_e32 v199, 0, v199, vcc                       // 000000011684: 018F8E80
	v_and_b32_e32 v199, v199, v198                             // 000000011688: 278F8DC7
	v_accvgpr_write_b32 a118, v199                             // 00000001168C: D3D94076 180001C7
	s_mov_b32 s54, 0x4c                                        // 000000011694: BEB600FF 0000004C
	v_add_i32 v197, s54, v196                                  // 00000001169C: D29C00C5 00038836
	v_cmp_lt_i32_e64 vcc, v197, 4                              // 0000000116A4: D0C1006A 000109C5
	v_min_u32_e32 v197, 4, v197                                // 0000000116AC: 1D8B8A84
	v_lshlrev_b32_e32 v197, 3, v197                            // 0000000116B0: 258B8A83
	v_lshrrev_b32_e64 v198, v197, -1                           // 0000000116B4: D11000C6 000183C5
	v_accvgpr_read_b32 v199, a103                              // 0000000116BC: D3D840C7 18000167
	v_cndmask_b32_e32 v199, 0, v199, vcc                       // 0000000116C4: 018F8E80
	v_and_b32_e32 v199, v199, v198                             // 0000000116C8: 278F8DC7
	v_accvgpr_write_b32 a103, v199                             // 0000000116CC: D3D94067 180001C7
	v_accvgpr_read_b32 v199, a119                              // 0000000116D4: D3D840C7 18000177
	v_cndmask_b32_e32 v199, 0, v199, vcc                       // 0000000116DC: 018F8E80
	v_and_b32_e32 v199, v199, v198                             // 0000000116E0: 278F8DC7
	v_accvgpr_write_b32 a119, v199                             // 0000000116E4: D3D94077 180001C7
	s_mov_b32 s54, 0x80                                        // 0000000116EC: BEB600FF 00000080
	v_add_i32 v197, s54, v196                                  // 0000000116F4: D29C00C5 00038836
	v_cmp_lt_i32_e64 vcc, v197, 4                              // 0000000116FC: D0C1006A 000109C5
	v_min_u32_e32 v197, 4, v197                                // 000000011704: 1D8B8A84
	v_lshlrev_b32_e32 v197, 3, v197                            // 000000011708: 258B8A83
	v_lshrrev_b32_e64 v198, v197, -1                           // 00000001170C: D11000C6 000183C5
	v_accvgpr_read_b32 v199, a104                              // 000000011714: D3D840C7 18000168
	v_cndmask_b32_e32 v199, 0, v199, vcc                       // 00000001171C: 018F8E80
	v_and_b32_e32 v199, v199, v198                             // 000000011720: 278F8DC7
	v_accvgpr_write_b32 a104, v199                             // 000000011724: D3D94068 180001C7
	v_accvgpr_read_b32 v199, a120                              // 00000001172C: D3D840C7 18000178
	v_cndmask_b32_e32 v199, 0, v199, vcc                       // 000000011734: 018F8E80
	v_and_b32_e32 v199, v199, v198                             // 000000011738: 278F8DC7
	v_accvgpr_write_b32 a120, v199                             // 00000001173C: D3D94078 180001C7
	s_mov_b32 s54, 0x84                                        // 000000011744: BEB600FF 00000084
	v_add_i32 v197, s54, v196                                  // 00000001174C: D29C00C5 00038836
	v_cmp_lt_i32_e64 vcc, v197, 4                              // 000000011754: D0C1006A 000109C5
	v_min_u32_e32 v197, 4, v197                                // 00000001175C: 1D8B8A84
	v_lshlrev_b32_e32 v197, 3, v197                            // 000000011760: 258B8A83
	v_lshrrev_b32_e64 v198, v197, -1                           // 000000011764: D11000C6 000183C5
	v_accvgpr_read_b32 v199, a105                              // 00000001176C: D3D840C7 18000169
	v_cndmask_b32_e32 v199, 0, v199, vcc                       // 000000011774: 018F8E80
	v_and_b32_e32 v199, v199, v198                             // 000000011778: 278F8DC7
	v_accvgpr_write_b32 a105, v199                             // 00000001177C: D3D94069 180001C7
	v_accvgpr_read_b32 v199, a121                              // 000000011784: D3D840C7 18000179
	v_cndmask_b32_e32 v199, 0, v199, vcc                       // 00000001178C: 018F8E80
	v_and_b32_e32 v199, v199, v198                             // 000000011790: 278F8DC7
	v_accvgpr_write_b32 a121, v199                             // 000000011794: D3D94079 180001C7
	s_mov_b32 s54, 0x88                                        // 00000001179C: BEB600FF 00000088
	v_add_i32 v197, s54, v196                                  // 0000000117A4: D29C00C5 00038836
	v_cmp_lt_i32_e64 vcc, v197, 4                              // 0000000117AC: D0C1006A 000109C5
	v_min_u32_e32 v197, 4, v197                                // 0000000117B4: 1D8B8A84
	v_lshlrev_b32_e32 v197, 3, v197                            // 0000000117B8: 258B8A83
	v_lshrrev_b32_e64 v198, v197, -1                           // 0000000117BC: D11000C6 000183C5
	v_accvgpr_read_b32 v199, a106                              // 0000000117C4: D3D840C7 1800016A
	v_cndmask_b32_e32 v199, 0, v199, vcc                       // 0000000117CC: 018F8E80
	v_and_b32_e32 v199, v199, v198                             // 0000000117D0: 278F8DC7
	v_accvgpr_write_b32 a106, v199                             // 0000000117D4: D3D9406A 180001C7
	v_accvgpr_read_b32 v199, a122                              // 0000000117DC: D3D840C7 1800017A
	v_cndmask_b32_e32 v199, 0, v199, vcc                       // 0000000117E4: 018F8E80
	v_and_b32_e32 v199, v199, v198                             // 0000000117E8: 278F8DC7
	v_accvgpr_write_b32 a122, v199                             // 0000000117EC: D3D9407A 180001C7
	s_mov_b32 s54, 0x8c                                        // 0000000117F4: BEB600FF 0000008C
	v_add_i32 v197, s54, v196                                  // 0000000117FC: D29C00C5 00038836
	v_cmp_lt_i32_e64 vcc, v197, 4                              // 000000011804: D0C1006A 000109C5
	v_min_u32_e32 v197, 4, v197                                // 00000001180C: 1D8B8A84
	v_lshlrev_b32_e32 v197, 3, v197                            // 000000011810: 258B8A83
	v_lshrrev_b32_e64 v198, v197, -1                           // 000000011814: D11000C6 000183C5
	v_accvgpr_read_b32 v199, a107                              // 00000001181C: D3D840C7 1800016B
	v_cndmask_b32_e32 v199, 0, v199, vcc                       // 000000011824: 018F8E80
	v_and_b32_e32 v199, v199, v198                             // 000000011828: 278F8DC7
	v_accvgpr_write_b32 a107, v199                             // 00000001182C: D3D9406B 180001C7
	v_accvgpr_read_b32 v199, a123                              // 000000011834: D3D840C7 1800017B
	v_cndmask_b32_e32 v199, 0, v199, vcc                       // 00000001183C: 018F8E80
	v_and_b32_e32 v199, v199, v198                             // 000000011840: 278F8DC7
	v_accvgpr_write_b32 a123, v199                             // 000000011844: D3D9407B 180001C7
	s_mov_b32 s54, 0xc0                                        // 00000001184C: BEB600FF 000000C0
	v_add_i32 v197, s54, v196                                  // 000000011854: D29C00C5 00038836
	v_cmp_lt_i32_e64 vcc, v197, 4                              // 00000001185C: D0C1006A 000109C5
	v_min_u32_e32 v197, 4, v197                                // 000000011864: 1D8B8A84
	v_lshlrev_b32_e32 v197, 3, v197                            // 000000011868: 258B8A83
	v_lshrrev_b32_e64 v198, v197, -1                           // 00000001186C: D11000C6 000183C5
	v_accvgpr_read_b32 v199, a108                              // 000000011874: D3D840C7 1800016C
	v_cndmask_b32_e32 v199, 0, v199, vcc                       // 00000001187C: 018F8E80
	v_and_b32_e32 v199, v199, v198                             // 000000011880: 278F8DC7
	v_accvgpr_write_b32 a108, v199                             // 000000011884: D3D9406C 180001C7
	v_accvgpr_read_b32 v199, a124                              // 00000001188C: D3D840C7 1800017C
	v_cndmask_b32_e32 v199, 0, v199, vcc                       // 000000011894: 018F8E80
	v_and_b32_e32 v199, v199, v198                             // 000000011898: 278F8DC7
	v_accvgpr_write_b32 a124, v199                             // 00000001189C: D3D9407C 180001C7
	s_mov_b32 s54, 0xc4                                        // 0000000118A4: BEB600FF 000000C4
	v_add_i32 v197, s54, v196                                  // 0000000118AC: D29C00C5 00038836
	v_cmp_lt_i32_e64 vcc, v197, 4                              // 0000000118B4: D0C1006A 000109C5
	v_min_u32_e32 v197, 4, v197                                // 0000000118BC: 1D8B8A84
	v_lshlrev_b32_e32 v197, 3, v197                            // 0000000118C0: 258B8A83
	v_lshrrev_b32_e64 v198, v197, -1                           // 0000000118C4: D11000C6 000183C5
	v_accvgpr_read_b32 v199, a109                              // 0000000118CC: D3D840C7 1800016D
	v_cndmask_b32_e32 v199, 0, v199, vcc                       // 0000000118D4: 018F8E80
	v_and_b32_e32 v199, v199, v198                             // 0000000118D8: 278F8DC7
	v_accvgpr_write_b32 a109, v199                             // 0000000118DC: D3D9406D 180001C7
	v_accvgpr_read_b32 v199, a125                              // 0000000118E4: D3D840C7 1800017D
	v_cndmask_b32_e32 v199, 0, v199, vcc                       // 0000000118EC: 018F8E80
	v_and_b32_e32 v199, v199, v198                             // 0000000118F0: 278F8DC7
	v_accvgpr_write_b32 a125, v199                             // 0000000118F4: D3D9407D 180001C7
	s_mov_b32 s54, 0xc8                                        // 0000000118FC: BEB600FF 000000C8
	v_add_i32 v197, s54, v196                                  // 000000011904: D29C00C5 00038836
	v_cmp_lt_i32_e64 vcc, v197, 4                              // 00000001190C: D0C1006A 000109C5
	v_min_u32_e32 v197, 4, v197                                // 000000011914: 1D8B8A84
	v_lshlrev_b32_e32 v197, 3, v197                            // 000000011918: 258B8A83
	v_lshrrev_b32_e64 v198, v197, -1                           // 00000001191C: D11000C6 000183C5
	v_accvgpr_read_b32 v199, a110                              // 000000011924: D3D840C7 1800016E
	v_cndmask_b32_e32 v199, 0, v199, vcc                       // 00000001192C: 018F8E80
	v_and_b32_e32 v199, v199, v198                             // 000000011930: 278F8DC7
	v_accvgpr_write_b32 a110, v199                             // 000000011934: D3D9406E 180001C7
	v_accvgpr_read_b32 v199, a126                              // 00000001193C: D3D840C7 1800017E
	v_cndmask_b32_e32 v199, 0, v199, vcc                       // 000000011944: 018F8E80
	v_and_b32_e32 v199, v199, v198                             // 000000011948: 278F8DC7
	v_accvgpr_write_b32 a126, v199                             // 00000001194C: D3D9407E 180001C7
	s_mov_b32 s54, 0xcc                                        // 000000011954: BEB600FF 000000CC
	v_add_i32 v197, s54, v196                                  // 00000001195C: D29C00C5 00038836
	v_cmp_lt_i32_e64 vcc, v197, 4                              // 000000011964: D0C1006A 000109C5
	v_min_u32_e32 v197, 4, v197                                // 00000001196C: 1D8B8A84
	v_lshlrev_b32_e32 v197, 3, v197                            // 000000011970: 258B8A83
	v_lshrrev_b32_e64 v198, v197, -1                           // 000000011974: D11000C6 000183C5
	v_accvgpr_read_b32 v199, a111                              // 00000001197C: D3D840C7 1800016F
	v_cndmask_b32_e32 v199, 0, v199, vcc                       // 000000011984: 018F8E80
	v_and_b32_e32 v199, v199, v198                             // 000000011988: 278F8DC7
	v_accvgpr_write_b32 a111, v199                             // 00000001198C: D3D9406F 180001C7
	v_accvgpr_read_b32 v199, a127                              // 000000011994: D3D840C7 1800017F
	v_cndmask_b32_e32 v199, 0, v199, vcc                       // 00000001199C: 018F8E80
	v_and_b32_e32 v199, v199, v198                             // 0000000119A0: 278F8DC7
	v_accvgpr_write_b32 a127, v199                             // 0000000119A4: D3D9407F 180001C7
	s_waitcnt vmcnt(63) expcnt(7) lgkmcnt(15)                  // 0000000119AC: BF8CCF7F
	v_mfma_f32_16x16x32_fp8_fp8 v[68:71], a[96:97], v[4:5], 0  // 0000000119B0: D3F30044 0A020960
	s_lshl_b32 s68, s76, 2                                     // 0000000119B8: 8E44824C
	v_mfma_f32_16x16x32_fp8_fp8 v[72:75], a[112:113], v[4:5], 0// 0000000119BC: D3F30048 0A020970
	s_cmp_lt_u32 s76, s77                                      // 0000000119C4: BF0A4D4C
	s_cselect_b32 s68, s68, 0                                  // 0000000119C8: 85448044
	v_mfma_f32_16x16x32_fp8_fp8 v[68:71], a[98:99], v[6:7], v[68:71]// 0000000119CC: D3F30044 0D120D62
	buffer_load_dwordx4 a[128:131], v227, s[16:19], 0 offen    // 0000000119D4: E05C1000 808480E3
	v_mfma_f32_16x16x32_fp8_fp8 v[72:75], a[114:115], v[6:7], v[72:75]// 0000000119DC: D3F30048 0D220D72
	s_addk_i32 s76, 0x1                                        // 0000000119E4: B74C0001
	s_waitcnt lgkmcnt(14)                                      // 0000000119E8: BF8CCE7F
	v_mfma_f32_16x16x32_fp8_fp8 v[68:71], a[100:101], v[8:9], v[68:71]// 0000000119EC: D3F30044 0D121164
	v_mfma_f32_16x16x32_fp8_fp8 v[72:75], a[116:117], v[8:9], v[72:75]// 0000000119F4: D3F30048 0D221174
	v_mfma_f32_16x16x32_fp8_fp8 v[68:71], a[102:103], v[10:11], v[68:71]// 0000000119FC: D3F30044 0D121566
	buffer_load_dwordx4 a[132:135], v228, s[16:19], 0 offen    // 000000011A04: E05C1000 808484E4
	v_mfma_f32_16x16x32_fp8_fp8 v[72:75], a[118:119], v[10:11], v[72:75]// 000000011A0C: D3F30048 0D221576
	s_waitcnt lgkmcnt(13)                                      // 000000011A14: BF8CCD7F
	v_mfma_f32_16x16x32_fp8_fp8 v[68:71], a[104:105], v[12:13], v[68:71]// 000000011A18: D3F30044 0D121968
	v_mfma_f32_16x16x32_fp8_fp8 v[72:75], a[120:121], v[12:13], v[72:75]// 000000011A20: D3F30048 0D221978
	v_mfma_f32_16x16x32_fp8_fp8 v[68:71], a[106:107], v[14:15], v[68:71]// 000000011A28: D3F30044 0D121D6A
	buffer_load_dwordx4 a[136:139], v229, s[16:19], 0 offen    // 000000011A30: E05C1000 808488E5
	v_mfma_f32_16x16x32_fp8_fp8 v[72:75], a[122:123], v[14:15], v[72:75]// 000000011A38: D3F30048 0D221D7A
	s_waitcnt lgkmcnt(12)                                      // 000000011A40: BF8CCC7F
	v_mfma_f32_16x16x32_fp8_fp8 v[68:71], a[108:109], v[16:17], v[68:71]// 000000011A44: D3F30044 0D12216C
	v_mfma_f32_16x16x32_fp8_fp8 v[72:75], a[124:125], v[16:17], v[72:75]// 000000011A4C: D3F30048 0D22217C
	v_mfma_f32_16x16x32_fp8_fp8 v[68:71], a[110:111], v[18:19], v[68:71]// 000000011A54: D3F30044 0D12256E
	buffer_load_dwordx4 a[140:143], v230, s[16:19], 0 offen    // 000000011A5C: E05C1000 80848CE6
	v_mfma_f32_16x16x32_fp8_fp8 v[72:75], a[126:127], v[18:19], v[72:75]// 000000011A64: D3F30048 0D22257E
	s_waitcnt lgkmcnt(11)                                      // 000000011A6C: BF8CCB7F
	v_mfma_f32_16x16x32_fp8_fp8 v[76:79], a[96:97], v[20:21], 0// 000000011A70: D3F3004C 0A022960
	v_mfma_f32_16x16x32_fp8_fp8 v[80:83], a[112:113], v[20:21], 0// 000000011A78: D3F30050 0A022970
	v_mfma_f32_16x16x32_fp8_fp8 v[76:79], a[98:99], v[22:23], v[76:79]// 000000011A80: D3F3004C 0D322D62
	buffer_load_dwordx4 a[144:147], v227, s[16:19], 0 offen offset:1024// 000000011A88: E05C1400 808490E3
	v_mfma_f32_16x16x32_fp8_fp8 v[80:83], a[114:115], v[22:23], v[80:83]// 000000011A90: D3F30050 0D422D72
	s_waitcnt lgkmcnt(10)                                      // 000000011A98: BF8CCA7F
	v_mfma_f32_16x16x32_fp8_fp8 v[76:79], a[100:101], v[24:25], v[76:79]// 000000011A9C: D3F3004C 0D323164
	v_mfma_f32_16x16x32_fp8_fp8 v[80:83], a[116:117], v[24:25], v[80:83]// 000000011AA4: D3F30050 0D423174
	v_mfma_f32_16x16x32_fp8_fp8 v[76:79], a[102:103], v[26:27], v[76:79]// 000000011AAC: D3F3004C 0D323566
	buffer_load_dwordx4 a[148:151], v228, s[16:19], 0 offen offset:1024// 000000011AB4: E05C1400 808494E4
	v_mfma_f32_16x16x32_fp8_fp8 v[80:83], a[118:119], v[26:27], v[80:83]// 000000011ABC: D3F30050 0D423576
	s_waitcnt lgkmcnt(9)                                       // 000000011AC4: BF8CC97F
	v_mfma_f32_16x16x32_fp8_fp8 v[76:79], a[104:105], v[28:29], v[76:79]// 000000011AC8: D3F3004C 0D323968
	v_mfma_f32_16x16x32_fp8_fp8 v[80:83], a[120:121], v[28:29], v[80:83]// 000000011AD0: D3F30050 0D423978
	v_mfma_f32_16x16x32_fp8_fp8 v[76:79], a[106:107], v[30:31], v[76:79]// 000000011AD8: D3F3004C 0D323D6A
	buffer_load_dwordx4 a[152:155], v229, s[16:19], 0 offen offset:1024// 000000011AE0: E05C1400 808498E5
	v_mfma_f32_16x16x32_fp8_fp8 v[80:83], a[122:123], v[30:31], v[80:83]// 000000011AE8: D3F30050 0D423D7A
	s_waitcnt lgkmcnt(8)                                       // 000000011AF0: BF8CC87F
	v_mfma_f32_16x16x32_fp8_fp8 v[76:79], a[108:109], v[32:33], v[76:79]// 000000011AF4: D3F3004C 0D32416C
	v_mfma_f32_16x16x32_fp8_fp8 v[80:83], a[124:125], v[32:33], v[80:83]// 000000011AFC: D3F30050 0D42417C
	v_mfma_f32_16x16x32_fp8_fp8 v[76:79], a[110:111], v[34:35], v[76:79]// 000000011B04: D3F3004C 0D32456E
	buffer_load_dwordx4 a[156:159], v230, s[16:19], 0 offen offset:1024// 000000011B0C: E05C1400 80849CE6
	v_mfma_f32_16x16x32_fp8_fp8 v[80:83], a[126:127], v[34:35], v[80:83]// 000000011B14: D3F30050 0D42457E
	s_waitcnt lgkmcnt(7)                                       // 000000011B1C: BF8CC77F
	v_mfma_f32_16x16x32_fp8_fp8 v[84:87], a[96:97], v[36:37], 0// 000000011B20: D3F30054 0A024960
	v_mfma_f32_16x16x32_fp8_fp8 v[88:91], a[112:113], v[36:37], 0// 000000011B28: D3F30058 0A024970
	v_mfma_f32_16x16x32_fp8_fp8 v[84:87], a[98:99], v[38:39], v[84:87]// 000000011B30: D3F30054 0D524D62
	v_mfma_f32_16x16x32_fp8_fp8 v[88:91], a[114:115], v[38:39], v[88:91]// 000000011B38: D3F30058 0D624D72
	s_waitcnt lgkmcnt(6)                                       // 000000011B40: BF8CC67F
	v_mfma_f32_16x16x32_fp8_fp8 v[84:87], a[100:101], v[40:41], v[84:87]// 000000011B44: D3F30054 0D525164
	v_mfma_f32_16x16x32_fp8_fp8 v[88:91], a[116:117], v[40:41], v[88:91]// 000000011B4C: D3F30058 0D625174
	v_mfma_f32_16x16x32_fp8_fp8 v[84:87], a[102:103], v[42:43], v[84:87]// 000000011B54: D3F30054 0D525566
	v_mfma_f32_16x16x32_fp8_fp8 v[88:91], a[118:119], v[42:43], v[88:91]// 000000011B5C: D3F30058 0D625576
	s_waitcnt lgkmcnt(5)                                       // 000000011B64: BF8CC57F
	v_mfma_f32_16x16x32_fp8_fp8 v[84:87], a[104:105], v[44:45], v[84:87]// 000000011B68: D3F30054 0D525968
	v_mfma_f32_16x16x32_fp8_fp8 v[88:91], a[120:121], v[44:45], v[88:91]// 000000011B70: D3F30058 0D625978
	v_mfma_f32_16x16x32_fp8_fp8 v[84:87], a[106:107], v[46:47], v[84:87]// 000000011B78: D3F30054 0D525D6A
	v_mfma_f32_16x16x32_fp8_fp8 v[88:91], a[122:123], v[46:47], v[88:91]// 000000011B80: D3F30058 0D625D7A
	s_waitcnt lgkmcnt(4)                                       // 000000011B88: BF8CC47F
	v_mfma_f32_16x16x32_fp8_fp8 v[84:87], a[108:109], v[48:49], v[84:87]// 000000011B8C: D3F30054 0D52616C
	v_mfma_f32_16x16x32_fp8_fp8 v[88:91], a[124:125], v[48:49], v[88:91]// 000000011B94: D3F30058 0D62617C
	v_mfma_f32_16x16x32_fp8_fp8 v[84:87], a[110:111], v[50:51], v[84:87]// 000000011B9C: D3F30054 0D52656E
	v_mfma_f32_16x16x32_fp8_fp8 v[88:91], a[126:127], v[50:51], v[88:91]// 000000011BA4: D3F30058 0D62657E
	s_waitcnt lgkmcnt(3)                                       // 000000011BAC: BF8CC37F
	v_mfma_f32_16x16x32_fp8_fp8 v[92:95], a[96:97], v[52:53], 0// 000000011BB0: D3F3005C 0A026960
	v_mfma_f32_16x16x32_fp8_fp8 v[96:99], a[112:113], v[52:53], 0// 000000011BB8: D3F30060 0A026970
	v_mfma_f32_16x16x32_fp8_fp8 v[92:95], a[98:99], v[54:55], v[92:95]// 000000011BC0: D3F3005C 0D726D62
	v_mfma_f32_16x16x32_fp8_fp8 v[96:99], a[114:115], v[54:55], v[96:99]// 000000011BC8: D3F30060 0D826D72
	s_waitcnt lgkmcnt(2)                                       // 000000011BD0: BF8CC27F
	v_mfma_f32_16x16x32_fp8_fp8 v[92:95], a[100:101], v[56:57], v[92:95]// 000000011BD4: D3F3005C 0D727164
	v_mfma_f32_16x16x32_fp8_fp8 v[96:99], a[116:117], v[56:57], v[96:99]// 000000011BDC: D3F30060 0D827174
	v_mfma_f32_16x16x32_fp8_fp8 v[92:95], a[102:103], v[58:59], v[92:95]// 000000011BE4: D3F3005C 0D727566
	v_mfma_f32_16x16x32_fp8_fp8 v[96:99], a[118:119], v[58:59], v[96:99]// 000000011BEC: D3F30060 0D827576
	s_waitcnt lgkmcnt(1)                                       // 000000011BF4: BF8CC17F
	v_mfma_f32_16x16x32_fp8_fp8 v[92:95], a[104:105], v[60:61], v[92:95]// 000000011BF8: D3F3005C 0D727968
	v_mfma_f32_16x16x32_fp8_fp8 v[96:99], a[120:121], v[60:61], v[96:99]// 000000011C00: D3F30060 0D827978
	v_mfma_f32_16x16x32_fp8_fp8 v[92:95], a[106:107], v[62:63], v[92:95]// 000000011C08: D3F3005C 0D727D6A
	v_mfma_f32_16x16x32_fp8_fp8 v[96:99], a[122:123], v[62:63], v[96:99]// 000000011C10: D3F30060 0D827D7A
	s_waitcnt lgkmcnt(0)                                       // 000000011C18: BF8CC07F
	v_mfma_f32_16x16x32_fp8_fp8 v[92:95], a[108:109], v[64:65], v[92:95]// 000000011C1C: D3F3005C 0D72816C
	v_mfma_f32_16x16x32_fp8_fp8 v[96:99], a[124:125], v[64:65], v[96:99]// 000000011C24: D3F30060 0D82817C
	v_mfma_f32_16x16x32_fp8_fp8 v[92:95], a[110:111], v[66:67], v[92:95]// 000000011C2C: D3F3005C 0D72856E
	v_mfma_f32_16x16x32_fp8_fp8 v[96:99], a[126:127], v[66:67], v[96:99]// 000000011C34: D3F30060 0D82857E
	s_load_dword s59, s[42:43], s68                            // 000000011C3C: C0000ED5 00000044
	s_addk_i32 s64, 0x100                                      // 000000011C44: B7400100

0000000000011c48 <label_3D12>:
	s_cmp_lt_i32 s64, s62                                      // 000000011C48: BF043E40
	s_cbranch_scc0 label_598E                                  // 000000011C4C: BF841C7A
	s_waitcnt vmcnt(10)                                        // 000000011C50: BF8C0F7A
	v_mfma_f32_16x16x32_fp8_fp8 v[4:7], a[64:65], a[0:1], 0    // 000000011C54: D3F30004 1A020140
	s_add_u32 s12, s86, s69                                    // 000000011C5C: 800C4556
	s_addc_u32 s13, s87, 0                                     // 000000011C60: 820D8057
	v_mfma_f32_16x16x32_fp8_fp8 v[4:7], a[66:67], a[2:3], v[4:7]// 000000011C64: D3F30004 1C120542
	s_add_u32 s16, s88, s70                                    // 000000011C6C: 80104658
	s_addc_u32 s17, s89, 0                                     // 000000011C70: 82118059
	v_mfma_f32_16x16x32_fp8_fp8 v[4:7], a[68:69], a[4:5], v[4:7]// 000000011C74: D3F30004 1C120944
	buffer_load_dwordx4 a[32:35], v225, s[12:15], 0 offen      // 000000011C7C: E05C1000 808320E1
	v_mfma_f32_16x16x32_fp8_fp8 v[4:7], a[70:71], a[6:7], v[4:7]// 000000011C84: D3F30004 1C120D46
	s_add_u32 s20, s90, s71                                    // 000000011C8C: 8014475A
	s_addc_u32 s21, s91, 0                                     // 000000011C90: 8215805B
	v_mfma_f32_16x16x32_fp8_fp8 v[8:11], a[72:73], a[0:1], 0   // 000000011C94: D3F30008 1A020148
	s_add_u32 s24, s92, s71                                    // 000000011C9C: 8018475C
	s_addc_u32 s25, s93, 0                                     // 000000011CA0: 8219805D
	v_mfma_f32_16x16x32_fp8_fp8 v[8:11], a[74:75], a[2:3], v[8:11]// 000000011CA4: D3F30008 1C22054A
	s_add_u32 s69, s69, 0x1000                                 // 000000011CAC: 8045FF45 00001000
	s_add_u32 s70, s70, 0x8000                                 // 000000011CB4: 8046FF46 00008000
	v_mfma_f32_16x16x32_fp8_fp8 v[8:11], a[76:77], a[4:5], v[8:11]// 000000011CBC: D3F30008 1C22094C
	buffer_load_dwordx4 a[36:39], v226, s[12:15], 0 offen      // 000000011CC4: E05C1000 808324E2
	v_mfma_f32_16x16x32_fp8_fp8 v[8:11], a[78:79], a[6:7], v[8:11]// 000000011CCC: D3F30008 1C220D4E
	s_add_u32 s71, s71, 0x400                                  // 000000011CD4: 8047FF47 00000400
	v_mfma_f32_16x16x32_fp8_fp8 v[12:15], a[80:81], a[0:1], 0  // 000000011CDC: D3F3000C 1A020150
	v_mfma_f32_16x16x32_fp8_fp8 v[12:15], a[82:83], a[2:3], v[12:15]// 000000011CE4: D3F3000C 1C320552
	v_mfma_f32_16x16x32_fp8_fp8 v[12:15], a[84:85], a[4:5], v[12:15]// 000000011CEC: D3F3000C 1C320954
	buffer_load_dwordx4 a[40:43], v225, s[12:15], 0 offen offset:1024// 000000011CF4: E05C1400 808328E1
	v_mfma_f32_16x16x32_fp8_fp8 v[12:15], a[86:87], a[6:7], v[12:15]// 000000011CFC: D3F3000C 1C320D56
	v_mfma_f32_16x16x32_fp8_fp8 v[16:19], a[88:89], a[0:1], 0  // 000000011D04: D3F30010 1A020158
	v_mfma_f32_16x16x32_fp8_fp8 v[16:19], a[90:91], a[2:3], v[16:19]// 000000011D0C: D3F30010 1C42055A
	v_mfma_f32_16x16x32_fp8_fp8 v[16:19], a[92:93], a[4:5], v[16:19]// 000000011D14: D3F30010 1C42095C
	buffer_load_dwordx4 a[44:47], v226, s[12:15], 0 offen offset:1024// 000000011D1C: E05C1400 80832CE2
	v_mfma_f32_16x16x32_fp8_fp8 v[16:19], a[94:95], a[6:7], v[16:19]// 000000011D24: D3F30010 1C420D5E
	v_mfma_f32_16x16x32_fp8_fp8 v[20:23], a[64:65], a[8:9], 0  // 000000011D2C: D3F30014 1A021140
	v_mfma_f32_16x16x32_fp8_fp8 v[20:23], a[66:67], a[10:11], v[20:23]// 000000011D34: D3F30014 1C521542
	v_mfma_f32_16x16x32_fp8_fp8 v[20:23], a[68:69], a[12:13], v[20:23]// 000000011D3C: D3F30014 1C521944
	buffer_load_dwordx4 a[48:51], v225, s[12:15], 0 offen offset:2048// 000000011D44: E05C1800 808330E1
	v_mfma_f32_16x16x32_fp8_fp8 v[20:23], a[70:71], a[14:15], v[20:23]// 000000011D4C: D3F30014 1C521D46
	v_mfma_f32_16x16x32_fp8_fp8 v[24:27], a[72:73], a[8:9], 0  // 000000011D54: D3F30018 1A021148
	v_mfma_f32_16x16x32_fp8_fp8 v[24:27], a[74:75], a[10:11], v[24:27]// 000000011D5C: D3F30018 1C62154A
	v_mfma_f32_16x16x32_fp8_fp8 v[24:27], a[76:77], a[12:13], v[24:27]// 000000011D64: D3F30018 1C62194C
	buffer_load_dwordx4 a[52:55], v226, s[12:15], 0 offen offset:2048// 000000011D6C: E05C1800 808334E2
	v_mfma_f32_16x16x32_fp8_fp8 v[24:27], a[78:79], a[14:15], v[24:27]// 000000011D74: D3F30018 1C621D4E
	v_mfma_f32_16x16x32_fp8_fp8 v[28:31], a[80:81], a[8:9], 0  // 000000011D7C: D3F3001C 1A021150
	v_mfma_f32_16x16x32_fp8_fp8 v[28:31], a[82:83], a[10:11], v[28:31]// 000000011D84: D3F3001C 1C721552
	v_mfma_f32_16x16x32_fp8_fp8 v[28:31], a[84:85], a[12:13], v[28:31]// 000000011D8C: D3F3001C 1C721954
	buffer_load_dwordx4 a[56:59], v225, s[12:15], 0 offen offset:3072// 000000011D94: E05C1C00 808338E1
	v_mfma_f32_16x16x32_fp8_fp8 v[28:31], a[86:87], a[14:15], v[28:31]// 000000011D9C: D3F3001C 1C721D56
	v_mfma_f32_16x16x32_fp8_fp8 v[32:35], a[88:89], a[8:9], 0  // 000000011DA4: D3F30020 1A021158
	v_mfma_f32_16x16x32_fp8_fp8 v[32:35], a[90:91], a[10:11], v[32:35]// 000000011DAC: D3F30020 1C82155A
	v_mfma_f32_16x16x32_fp8_fp8 v[32:35], a[92:93], a[12:13], v[32:35]// 000000011DB4: D3F30020 1C82195C
	buffer_load_dwordx4 a[60:63], v226, s[12:15], 0 offen offset:3072// 000000011DBC: E05C1C00 80833CE2
	v_mfma_f32_16x16x32_fp8_fp8 v[32:35], a[94:95], a[14:15], v[32:35]// 000000011DC4: D3F30020 1C821D5E
	v_mfma_f32_16x16x32_fp8_fp8 v[36:39], a[64:65], a[16:17], 0// 000000011DCC: D3F30024 1A022140
	v_mfma_f32_16x16x32_fp8_fp8 v[36:39], a[66:67], a[18:19], v[36:39]// 000000011DD4: D3F30024 1C922542
	v_mfma_f32_16x16x32_fp8_fp8 v[36:39], a[68:69], a[20:21], v[36:39]// 000000011DDC: D3F30024 1C922944
	v_mfma_f32_16x16x32_fp8_fp8 v[36:39], a[70:71], a[22:23], v[36:39]// 000000011DE4: D3F30024 1C922D46
	v_mfma_f32_16x16x32_fp8_fp8 v[40:43], a[72:73], a[16:17], 0// 000000011DEC: D3F30028 1A022148
	v_mfma_f32_16x16x32_fp8_fp8 v[40:43], a[74:75], a[18:19], v[40:43]// 000000011DF4: D3F30028 1CA2254A
	v_mfma_f32_16x16x32_fp8_fp8 v[40:43], a[76:77], a[20:21], v[40:43]// 000000011DFC: D3F30028 1CA2294C
	v_mfma_f32_16x16x32_fp8_fp8 v[40:43], a[78:79], a[22:23], v[40:43]// 000000011E04: D3F30028 1CA22D4E
	v_mfma_f32_16x16x32_fp8_fp8 v[44:47], a[80:81], a[16:17], 0// 000000011E0C: D3F3002C 1A022150
	v_mfma_f32_16x16x32_fp8_fp8 v[44:47], a[82:83], a[18:19], v[44:47]// 000000011E14: D3F3002C 1CB22552
	v_mfma_f32_16x16x32_fp8_fp8 v[44:47], a[84:85], a[20:21], v[44:47]// 000000011E1C: D3F3002C 1CB22954
	v_mfma_f32_16x16x32_fp8_fp8 v[44:47], a[86:87], a[22:23], v[44:47]// 000000011E24: D3F3002C 1CB22D56
	v_mfma_f32_16x16x32_fp8_fp8 v[48:51], a[88:89], a[16:17], 0// 000000011E2C: D3F30030 1A022158
	v_mfma_f32_16x16x32_fp8_fp8 v[48:51], a[90:91], a[18:19], v[48:51]// 000000011E34: D3F30030 1CC2255A
	v_mfma_f32_16x16x32_fp8_fp8 v[48:51], a[92:93], a[20:21], v[48:51]// 000000011E3C: D3F30030 1CC2295C
	v_mfma_f32_16x16x32_fp8_fp8 v[48:51], a[94:95], a[22:23], v[48:51]// 000000011E44: D3F30030 1CC22D5E
	v_mfma_f32_16x16x32_fp8_fp8 v[52:55], a[64:65], a[24:25], 0// 000000011E4C: D3F30034 1A023140
	v_mfma_f32_16x16x32_fp8_fp8 v[52:55], a[66:67], a[26:27], v[52:55]// 000000011E54: D3F30034 1CD23542
	v_mfma_f32_16x16x32_fp8_fp8 v[52:55], a[68:69], a[28:29], v[52:55]// 000000011E5C: D3F30034 1CD23944
	v_mfma_f32_16x16x32_fp8_fp8 v[52:55], a[70:71], a[30:31], v[52:55]// 000000011E64: D3F30034 1CD23D46
	v_mfma_f32_16x16x32_fp8_fp8 v[56:59], a[72:73], a[24:25], 0// 000000011E6C: D3F30038 1A023148
	v_mfma_f32_16x16x32_fp8_fp8 v[56:59], a[74:75], a[26:27], v[56:59]// 000000011E74: D3F30038 1CE2354A
	v_mfma_f32_16x16x32_fp8_fp8 v[56:59], a[76:77], a[28:29], v[56:59]// 000000011E7C: D3F30038 1CE2394C
	v_mfma_f32_16x16x32_fp8_fp8 v[56:59], a[78:79], a[30:31], v[56:59]// 000000011E84: D3F30038 1CE23D4E
	v_mfma_f32_16x16x32_fp8_fp8 v[60:63], a[80:81], a[24:25], 0// 000000011E8C: D3F3003C 1A023150
	v_mfma_f32_16x16x32_fp8_fp8 v[60:63], a[82:83], a[26:27], v[60:63]// 000000011E94: D3F3003C 1CF23552
	v_mfma_f32_16x16x32_fp8_fp8 v[60:63], a[84:85], a[28:29], v[60:63]// 000000011E9C: D3F3003C 1CF23954
	v_mfma_f32_16x16x32_fp8_fp8 v[60:63], a[86:87], a[30:31], v[60:63]// 000000011EA4: D3F3003C 1CF23D56
	v_mfma_f32_16x16x32_fp8_fp8 v[64:67], a[88:89], a[24:25], 0// 000000011EAC: D3F30040 1A023158
	v_mfma_f32_16x16x32_fp8_fp8 v[64:67], a[90:91], a[26:27], v[64:67]// 000000011EB4: D3F30040 1D02355A
	v_mfma_f32_16x16x32_fp8_fp8 v[64:67], a[92:93], a[28:29], v[64:67]// 000000011EBC: D3F30040 1D02395C
	v_mfma_f32_16x16x32_fp8_fp8 v[64:67], a[94:95], a[30:31], v[64:67]// 000000011EC4: D3F30040 1D023D5E
	s_waitcnt vmcnt(16)                                        // 000000011ECC: BF8C4F70
	v_pk_mul_f32 v[4:5], v[132:133], v[4:5]                    // 000000011ED0: D3B14004 18020984
	v_pk_mul_f32 v[6:7], v[132:133], v[6:7]                    // 000000011ED8: D3B14006 18020D84
	v_mul_f32_dpp v4, v141, v4 row_newbcast:0 row_mask:0xf bank_mask:0xf// 000000011EE0: 0A0808FA FF01508D
	v_mul_f32_dpp v5, v141, v5 row_newbcast:1 row_mask:0xf bank_mask:0xf// 000000011EE8: 0A0A0AFA FF01518D
	v_mul_f32_dpp v6, v141, v6 row_newbcast:2 row_mask:0xf bank_mask:0xf// 000000011EF0: 0A0C0CFA FF01528D
	v_mul_f32_dpp v7, v141, v7 row_newbcast:3 row_mask:0xf bank_mask:0xf// 000000011EF8: 0A0E0EFA FF01538D
	v_pk_mul_f32 v[8:9], v[132:133], v[8:9]                    // 000000011F00: D3B14008 18021184
	v_pk_mul_f32 v[10:11], v[132:133], v[10:11]                // 000000011F08: D3B1400A 18021584
	v_mul_f32_dpp v8, v141, v8 row_newbcast:4 row_mask:0xf bank_mask:0xf// 000000011F10: 0A1010FA FF01548D
	v_mul_f32_dpp v9, v141, v9 row_newbcast:5 row_mask:0xf bank_mask:0xf// 000000011F18: 0A1212FA FF01558D
	v_mul_f32_dpp v10, v141, v10 row_newbcast:6 row_mask:0xf bank_mask:0xf// 000000011F20: 0A1414FA FF01568D
	v_mul_f32_dpp v11, v141, v11 row_newbcast:7 row_mask:0xf bank_mask:0xf// 000000011F28: 0A1616FA FF01578D
	v_pk_mul_f32 v[12:13], v[132:133], v[12:13]                // 000000011F30: D3B1400C 18021984
	v_pk_mul_f32 v[14:15], v[132:133], v[14:15]                // 000000011F38: D3B1400E 18021D84
	v_mul_f32_dpp v12, v141, v12 row_newbcast:8 row_mask:0xf bank_mask:0xf// 000000011F40: 0A1818FA FF01588D
	v_mul_f32_dpp v13, v141, v13 row_newbcast:9 row_mask:0xf bank_mask:0xf// 000000011F48: 0A1A1AFA FF01598D
	v_mul_f32_dpp v14, v141, v14 row_newbcast:10 row_mask:0xf bank_mask:0xf// 000000011F50: 0A1C1CFA FF015A8D
	v_mul_f32_dpp v15, v141, v15 row_newbcast:11 row_mask:0xf bank_mask:0xf// 000000011F58: 0A1E1EFA FF015B8D
	v_pk_mul_f32 v[16:17], v[132:133], v[16:17]                // 000000011F60: D3B14010 18022184
	v_pk_mul_f32 v[18:19], v[132:133], v[18:19]                // 000000011F68: D3B14012 18022584
	v_mul_f32_dpp v16, v141, v16 row_newbcast:12 row_mask:0xf bank_mask:0xf// 000000011F70: 0A2020FA FF015C8D
	v_mul_f32_dpp v17, v141, v17 row_newbcast:13 row_mask:0xf bank_mask:0xf// 000000011F78: 0A2222FA FF015D8D
	v_mul_f32_dpp v18, v141, v18 row_newbcast:14 row_mask:0xf bank_mask:0xf// 000000011F80: 0A2424FA FF015E8D
	v_mul_f32_dpp v19, v141, v19 row_newbcast:15 row_mask:0xf bank_mask:0xf// 000000011F88: 0A2626FA FF015F8D
	v_pk_mul_f32 v[20:21], v[134:135], v[20:21]                // 000000011F90: D3B14014 18022986
	v_pk_mul_f32 v[22:23], v[134:135], v[22:23]                // 000000011F98: D3B14016 18022D86
	v_mul_f32_dpp v20, v141, v20 row_newbcast:0 row_mask:0xf bank_mask:0xf// 000000011FA0: 0A2828FA FF01508D
	v_mul_f32_dpp v21, v141, v21 row_newbcast:1 row_mask:0xf bank_mask:0xf// 000000011FA8: 0A2A2AFA FF01518D
	v_mul_f32_dpp v22, v141, v22 row_newbcast:2 row_mask:0xf bank_mask:0xf// 000000011FB0: 0A2C2CFA FF01528D
	v_mul_f32_dpp v23, v141, v23 row_newbcast:3 row_mask:0xf bank_mask:0xf// 000000011FB8: 0A2E2EFA FF01538D
	v_pk_mul_f32 v[24:25], v[134:135], v[24:25]                // 000000011FC0: D3B14018 18023186
	v_pk_mul_f32 v[26:27], v[134:135], v[26:27]                // 000000011FC8: D3B1401A 18023586
	v_mul_f32_dpp v24, v141, v24 row_newbcast:4 row_mask:0xf bank_mask:0xf// 000000011FD0: 0A3030FA FF01548D
	v_mul_f32_dpp v25, v141, v25 row_newbcast:5 row_mask:0xf bank_mask:0xf// 000000011FD8: 0A3232FA FF01558D
	v_mul_f32_dpp v26, v141, v26 row_newbcast:6 row_mask:0xf bank_mask:0xf// 000000011FE0: 0A3434FA FF01568D
	v_mul_f32_dpp v27, v141, v27 row_newbcast:7 row_mask:0xf bank_mask:0xf// 000000011FE8: 0A3636FA FF01578D
	v_pk_mul_f32 v[28:29], v[134:135], v[28:29]                // 000000011FF0: D3B1401C 18023986
	v_pk_mul_f32 v[30:31], v[134:135], v[30:31]                // 000000011FF8: D3B1401E 18023D86
	v_mul_f32_dpp v28, v141, v28 row_newbcast:8 row_mask:0xf bank_mask:0xf// 000000012000: 0A3838FA FF01588D
	v_mul_f32_dpp v29, v141, v29 row_newbcast:9 row_mask:0xf bank_mask:0xf// 000000012008: 0A3A3AFA FF01598D
	v_mul_f32_dpp v30, v141, v30 row_newbcast:10 row_mask:0xf bank_mask:0xf// 000000012010: 0A3C3CFA FF015A8D
	v_mul_f32_dpp v31, v141, v31 row_newbcast:11 row_mask:0xf bank_mask:0xf// 000000012018: 0A3E3EFA FF015B8D
	v_pk_mul_f32 v[32:33], v[134:135], v[32:33]                // 000000012020: D3B14020 18024186
	v_pk_mul_f32 v[34:35], v[134:135], v[34:35]                // 000000012028: D3B14022 18024586
	v_mul_f32_dpp v32, v141, v32 row_newbcast:12 row_mask:0xf bank_mask:0xf// 000000012030: 0A4040FA FF015C8D
	v_mul_f32_dpp v33, v141, v33 row_newbcast:13 row_mask:0xf bank_mask:0xf// 000000012038: 0A4242FA FF015D8D
	v_mul_f32_dpp v34, v141, v34 row_newbcast:14 row_mask:0xf bank_mask:0xf// 000000012040: 0A4444FA FF015E8D
	v_mul_f32_dpp v35, v141, v35 row_newbcast:15 row_mask:0xf bank_mask:0xf// 000000012048: 0A4646FA FF015F8D
	v_pk_mul_f32 v[36:37], v[136:137], v[36:37]                // 000000012050: D3B14024 18024988
	v_pk_mul_f32 v[38:39], v[136:137], v[38:39]                // 000000012058: D3B14026 18024D88
	v_mul_f32_dpp v36, v141, v36 row_newbcast:0 row_mask:0xf bank_mask:0xf// 000000012060: 0A4848FA FF01508D
	v_mul_f32_dpp v37, v141, v37 row_newbcast:1 row_mask:0xf bank_mask:0xf// 000000012068: 0A4A4AFA FF01518D
	v_mul_f32_dpp v38, v141, v38 row_newbcast:2 row_mask:0xf bank_mask:0xf// 000000012070: 0A4C4CFA FF01528D
	v_mul_f32_dpp v39, v141, v39 row_newbcast:3 row_mask:0xf bank_mask:0xf// 000000012078: 0A4E4EFA FF01538D
	v_pk_mul_f32 v[40:41], v[136:137], v[40:41]                // 000000012080: D3B14028 18025188
	v_pk_mul_f32 v[42:43], v[136:137], v[42:43]                // 000000012088: D3B1402A 18025588
	v_mul_f32_dpp v40, v141, v40 row_newbcast:4 row_mask:0xf bank_mask:0xf// 000000012090: 0A5050FA FF01548D
	v_mul_f32_dpp v41, v141, v41 row_newbcast:5 row_mask:0xf bank_mask:0xf// 000000012098: 0A5252FA FF01558D
	v_mul_f32_dpp v42, v141, v42 row_newbcast:6 row_mask:0xf bank_mask:0xf// 0000000120A0: 0A5454FA FF01568D
	v_mul_f32_dpp v43, v141, v43 row_newbcast:7 row_mask:0xf bank_mask:0xf// 0000000120A8: 0A5656FA FF01578D
	v_pk_mul_f32 v[44:45], v[136:137], v[44:45]                // 0000000120B0: D3B1402C 18025988
	v_pk_mul_f32 v[46:47], v[136:137], v[46:47]                // 0000000120B8: D3B1402E 18025D88
	v_mul_f32_dpp v44, v141, v44 row_newbcast:8 row_mask:0xf bank_mask:0xf// 0000000120C0: 0A5858FA FF01588D
	v_mul_f32_dpp v45, v141, v45 row_newbcast:9 row_mask:0xf bank_mask:0xf// 0000000120C8: 0A5A5AFA FF01598D
	v_mul_f32_dpp v46, v141, v46 row_newbcast:10 row_mask:0xf bank_mask:0xf// 0000000120D0: 0A5C5CFA FF015A8D
	v_mul_f32_dpp v47, v141, v47 row_newbcast:11 row_mask:0xf bank_mask:0xf// 0000000120D8: 0A5E5EFA FF015B8D
	v_pk_mul_f32 v[48:49], v[136:137], v[48:49]                // 0000000120E0: D3B14030 18026188
	v_pk_mul_f32 v[50:51], v[136:137], v[50:51]                // 0000000120E8: D3B14032 18026588
	v_mul_f32_dpp v48, v141, v48 row_newbcast:12 row_mask:0xf bank_mask:0xf// 0000000120F0: 0A6060FA FF015C8D
	v_mul_f32_dpp v49, v141, v49 row_newbcast:13 row_mask:0xf bank_mask:0xf// 0000000120F8: 0A6262FA FF015D8D
	v_mul_f32_dpp v50, v141, v50 row_newbcast:14 row_mask:0xf bank_mask:0xf// 000000012100: 0A6464FA FF015E8D
	v_mul_f32_dpp v51, v141, v51 row_newbcast:15 row_mask:0xf bank_mask:0xf// 000000012108: 0A6666FA FF015F8D
	v_pk_mul_f32 v[52:53], v[138:139], v[52:53]                // 000000012110: D3B14034 1802698A
	v_pk_mul_f32 v[54:55], v[138:139], v[54:55]                // 000000012118: D3B14036 18026D8A
	v_mul_f32_dpp v52, v141, v52 row_newbcast:0 row_mask:0xf bank_mask:0xf// 000000012120: 0A6868FA FF01508D
	v_mul_f32_dpp v53, v141, v53 row_newbcast:1 row_mask:0xf bank_mask:0xf// 000000012128: 0A6A6AFA FF01518D
	v_mul_f32_dpp v54, v141, v54 row_newbcast:2 row_mask:0xf bank_mask:0xf// 000000012130: 0A6C6CFA FF01528D
	v_mul_f32_dpp v55, v141, v55 row_newbcast:3 row_mask:0xf bank_mask:0xf// 000000012138: 0A6E6EFA FF01538D
	v_pk_mul_f32 v[56:57], v[138:139], v[56:57]                // 000000012140: D3B14038 1802718A
	v_pk_mul_f32 v[58:59], v[138:139], v[58:59]                // 000000012148: D3B1403A 1802758A
	v_mul_f32_dpp v56, v141, v56 row_newbcast:4 row_mask:0xf bank_mask:0xf// 000000012150: 0A7070FA FF01548D
	v_mul_f32_dpp v57, v141, v57 row_newbcast:5 row_mask:0xf bank_mask:0xf// 000000012158: 0A7272FA FF01558D
	v_mul_f32_dpp v58, v141, v58 row_newbcast:6 row_mask:0xf bank_mask:0xf// 000000012160: 0A7474FA FF01568D
	v_mul_f32_dpp v59, v141, v59 row_newbcast:7 row_mask:0xf bank_mask:0xf// 000000012168: 0A7676FA FF01578D
	v_pk_mul_f32 v[60:61], v[138:139], v[60:61]                // 000000012170: D3B1403C 1802798A
	v_pk_mul_f32 v[62:63], v[138:139], v[62:63]                // 000000012178: D3B1403E 18027D8A
	v_mul_f32_dpp v60, v141, v60 row_newbcast:8 row_mask:0xf bank_mask:0xf// 000000012180: 0A7878FA FF01588D
	v_mul_f32_dpp v61, v141, v61 row_newbcast:9 row_mask:0xf bank_mask:0xf// 000000012188: 0A7A7AFA FF01598D
	v_mul_f32_dpp v62, v141, v62 row_newbcast:10 row_mask:0xf bank_mask:0xf// 000000012190: 0A7C7CFA FF015A8D
	v_mul_f32_dpp v63, v141, v63 row_newbcast:11 row_mask:0xf bank_mask:0xf// 000000012198: 0A7E7EFA FF015B8D
	v_pk_mul_f32 v[64:65], v[138:139], v[64:65]                // 0000000121A0: D3B14040 1802818A
	v_pk_mul_f32 v[66:67], v[138:139], v[66:67]                // 0000000121A8: D3B14042 1802858A
	v_mul_f32_dpp v64, v141, v64 row_newbcast:12 row_mask:0xf bank_mask:0xf// 0000000121B0: 0A8080FA FF015C8D
	v_mul_f32_dpp v65, v141, v65 row_newbcast:13 row_mask:0xf bank_mask:0xf// 0000000121B8: 0A8282FA FF015D8D
	v_mul_f32_dpp v66, v141, v66 row_newbcast:14 row_mask:0xf bank_mask:0xf// 0000000121C0: 0A8484FA FF015E8D
	v_mul_f32_dpp v67, v141, v67 row_newbcast:15 row_mask:0xf bank_mask:0xf// 0000000121C8: 0A8686FA FF015F8D
	v_add_u32_e32 v196, s64, v215                              // 0000000121D0: 6989AE40
	v_add_u32_e32 v197, 0, v196                                // 0000000121D4: 698B8880
	v_cmp_lt_u32_e64 s[98:99], v197, v211                      // 0000000121D8: D0C90062 0003A7C5
	s_nop 0                                                    // 0000000121E0: BF800000
	v_cndmask_b32_e64 v4, v216, v4, s[98:99]                   // 0000000121E4: D1000004 018A09D8
	v_add_u32_e32 v197, 1, v196                                // 0000000121EC: 698B8881
	v_cmp_lt_u32_e64 s[98:99], v197, v211                      // 0000000121F0: D0C90062 0003A7C5
	s_nop 0                                                    // 0000000121F8: BF800000
	v_cndmask_b32_e64 v5, v216, v5, s[98:99]                   // 0000000121FC: D1000005 018A0BD8
	v_add_u32_e32 v197, 2, v196                                // 000000012204: 698B8882
	v_cmp_lt_u32_e64 s[98:99], v197, v211                      // 000000012208: D0C90062 0003A7C5
	s_nop 0                                                    // 000000012210: BF800000
	v_cndmask_b32_e64 v6, v216, v6, s[98:99]                   // 000000012214: D1000006 018A0DD8
	v_add_u32_e32 v197, 3, v196                                // 00000001221C: 698B8883
	v_cmp_lt_u32_e64 s[98:99], v197, v211                      // 000000012220: D0C90062 0003A7C5
	s_nop 0                                                    // 000000012228: BF800000
	v_cndmask_b32_e64 v7, v216, v7, s[98:99]                   // 00000001222C: D1000007 018A0FD8
	v_add_u32_e32 v197, 64, v196                               // 000000012234: 698B88C0
	v_cmp_lt_u32_e64 s[98:99], v197, v211                      // 000000012238: D0C90062 0003A7C5
	s_nop 0                                                    // 000000012240: BF800000
	v_cndmask_b32_e64 v8, v216, v8, s[98:99]                   // 000000012244: D1000008 018A11D8
	v_add_u32_e32 v197, 0x41, v196                             // 00000001224C: 698B88FF 00000041
	v_cmp_lt_u32_e64 s[98:99], v197, v211                      // 000000012254: D0C90062 0003A7C5
	s_nop 0                                                    // 00000001225C: BF800000
	v_cndmask_b32_e64 v9, v216, v9, s[98:99]                   // 000000012260: D1000009 018A13D8
	v_add_u32_e32 v197, 0x42, v196                             // 000000012268: 698B88FF 00000042
	v_cmp_lt_u32_e64 s[98:99], v197, v211                      // 000000012270: D0C90062 0003A7C5
	s_nop 0                                                    // 000000012278: BF800000
	v_cndmask_b32_e64 v10, v216, v10, s[98:99]                 // 00000001227C: D100000A 018A15D8
	v_add_u32_e32 v197, 0x43, v196                             // 000000012284: 698B88FF 00000043
	v_cmp_lt_u32_e64 s[98:99], v197, v211                      // 00000001228C: D0C90062 0003A7C5
	s_nop 0                                                    // 000000012294: BF800000
	v_cndmask_b32_e64 v11, v216, v11, s[98:99]                 // 000000012298: D100000B 018A17D8
	v_add_u32_e32 v197, 0x80, v196                             // 0000000122A0: 698B88FF 00000080
	v_cmp_lt_u32_e64 s[98:99], v197, v211                      // 0000000122A8: D0C90062 0003A7C5
	s_nop 0                                                    // 0000000122B0: BF800000
	v_cndmask_b32_e64 v12, v216, v12, s[98:99]                 // 0000000122B4: D100000C 018A19D8
	v_add_u32_e32 v197, 0x81, v196                             // 0000000122BC: 698B88FF 00000081
	v_cmp_lt_u32_e64 s[98:99], v197, v211                      // 0000000122C4: D0C90062 0003A7C5
	s_nop 0                                                    // 0000000122CC: BF800000
	v_cndmask_b32_e64 v13, v216, v13, s[98:99]                 // 0000000122D0: D100000D 018A1BD8
	v_add_u32_e32 v197, 0x82, v196                             // 0000000122D8: 698B88FF 00000082
	v_cmp_lt_u32_e64 s[98:99], v197, v211                      // 0000000122E0: D0C90062 0003A7C5
	s_nop 0                                                    // 0000000122E8: BF800000
	v_cndmask_b32_e64 v14, v216, v14, s[98:99]                 // 0000000122EC: D100000E 018A1DD8
	v_add_u32_e32 v197, 0x83, v196                             // 0000000122F4: 698B88FF 00000083
	v_cmp_lt_u32_e64 s[98:99], v197, v211                      // 0000000122FC: D0C90062 0003A7C5
	s_nop 0                                                    // 000000012304: BF800000
	v_cndmask_b32_e64 v15, v216, v15, s[98:99]                 // 000000012308: D100000F 018A1FD8
	v_add_u32_e32 v197, 0xc0, v196                             // 000000012310: 698B88FF 000000C0
	v_cmp_lt_u32_e64 s[98:99], v197, v211                      // 000000012318: D0C90062 0003A7C5
	s_nop 0                                                    // 000000012320: BF800000
	v_cndmask_b32_e64 v16, v216, v16, s[98:99]                 // 000000012324: D1000010 018A21D8
	v_add_u32_e32 v197, 0xc1, v196                             // 00000001232C: 698B88FF 000000C1
	v_cmp_lt_u32_e64 s[98:99], v197, v211                      // 000000012334: D0C90062 0003A7C5
	s_nop 0                                                    // 00000001233C: BF800000
	v_cndmask_b32_e64 v17, v216, v17, s[98:99]                 // 000000012340: D1000011 018A23D8
	v_add_u32_e32 v197, 0xc2, v196                             // 000000012348: 698B88FF 000000C2
	v_cmp_lt_u32_e64 s[98:99], v197, v211                      // 000000012350: D0C90062 0003A7C5
	s_nop 0                                                    // 000000012358: BF800000
	v_cndmask_b32_e64 v18, v216, v18, s[98:99]                 // 00000001235C: D1000012 018A25D8
	v_add_u32_e32 v197, 0xc3, v196                             // 000000012364: 698B88FF 000000C3
	v_cmp_lt_u32_e64 s[98:99], v197, v211                      // 00000001236C: D0C90062 0003A7C5
	s_nop 0                                                    // 000000012374: BF800000
	v_cndmask_b32_e64 v19, v216, v19, s[98:99]                 // 000000012378: D1000013 018A27D8
	v_add_u32_e32 v197, 0, v196                                // 000000012380: 698B8880
	v_cmp_lt_u32_e64 s[98:99], v197, v212                      // 000000012384: D0C90062 0003A9C5
	s_nop 0                                                    // 00000001238C: BF800000
	v_cndmask_b32_e64 v20, v216, v20, s[98:99]                 // 000000012390: D1000014 018A29D8
	v_add_u32_e32 v197, 1, v196                                // 000000012398: 698B8881
	v_cmp_lt_u32_e64 s[98:99], v197, v212                      // 00000001239C: D0C90062 0003A9C5
	s_nop 0                                                    // 0000000123A4: BF800000
	v_cndmask_b32_e64 v21, v216, v21, s[98:99]                 // 0000000123A8: D1000015 018A2BD8
	v_add_u32_e32 v197, 2, v196                                // 0000000123B0: 698B8882
	v_cmp_lt_u32_e64 s[98:99], v197, v212                      // 0000000123B4: D0C90062 0003A9C5
	s_nop 0                                                    // 0000000123BC: BF800000
	v_cndmask_b32_e64 v22, v216, v22, s[98:99]                 // 0000000123C0: D1000016 018A2DD8
	v_add_u32_e32 v197, 3, v196                                // 0000000123C8: 698B8883
	v_cmp_lt_u32_e64 s[98:99], v197, v212                      // 0000000123CC: D0C90062 0003A9C5
	s_nop 0                                                    // 0000000123D4: BF800000
	v_cndmask_b32_e64 v23, v216, v23, s[98:99]                 // 0000000123D8: D1000017 018A2FD8
	v_add_u32_e32 v197, 64, v196                               // 0000000123E0: 698B88C0
	v_cmp_lt_u32_e64 s[98:99], v197, v212                      // 0000000123E4: D0C90062 0003A9C5
	s_nop 0                                                    // 0000000123EC: BF800000
	v_cndmask_b32_e64 v24, v216, v24, s[98:99]                 // 0000000123F0: D1000018 018A31D8
	v_add_u32_e32 v197, 0x41, v196                             // 0000000123F8: 698B88FF 00000041
	v_cmp_lt_u32_e64 s[98:99], v197, v212                      // 000000012400: D0C90062 0003A9C5
	s_nop 0                                                    // 000000012408: BF800000
	v_cndmask_b32_e64 v25, v216, v25, s[98:99]                 // 00000001240C: D1000019 018A33D8
	v_add_u32_e32 v197, 0x42, v196                             // 000000012414: 698B88FF 00000042
	v_cmp_lt_u32_e64 s[98:99], v197, v212                      // 00000001241C: D0C90062 0003A9C5
	s_nop 0                                                    // 000000012424: BF800000
	v_cndmask_b32_e64 v26, v216, v26, s[98:99]                 // 000000012428: D100001A 018A35D8
	v_add_u32_e32 v197, 0x43, v196                             // 000000012430: 698B88FF 00000043
	v_cmp_lt_u32_e64 s[98:99], v197, v212                      // 000000012438: D0C90062 0003A9C5
	s_nop 0                                                    // 000000012440: BF800000
	v_cndmask_b32_e64 v27, v216, v27, s[98:99]                 // 000000012444: D100001B 018A37D8
	v_add_u32_e32 v197, 0x80, v196                             // 00000001244C: 698B88FF 00000080
	v_cmp_lt_u32_e64 s[98:99], v197, v212                      // 000000012454: D0C90062 0003A9C5
	s_nop 0                                                    // 00000001245C: BF800000
	v_cndmask_b32_e64 v28, v216, v28, s[98:99]                 // 000000012460: D100001C 018A39D8
	v_add_u32_e32 v197, 0x81, v196                             // 000000012468: 698B88FF 00000081
	v_cmp_lt_u32_e64 s[98:99], v197, v212                      // 000000012470: D0C90062 0003A9C5
	s_nop 0                                                    // 000000012478: BF800000
	v_cndmask_b32_e64 v29, v216, v29, s[98:99]                 // 00000001247C: D100001D 018A3BD8
	v_add_u32_e32 v197, 0x82, v196                             // 000000012484: 698B88FF 00000082
	v_cmp_lt_u32_e64 s[98:99], v197, v212                      // 00000001248C: D0C90062 0003A9C5
	s_nop 0                                                    // 000000012494: BF800000
	v_cndmask_b32_e64 v30, v216, v30, s[98:99]                 // 000000012498: D100001E 018A3DD8
	v_add_u32_e32 v197, 0x83, v196                             // 0000000124A0: 698B88FF 00000083
	v_cmp_lt_u32_e64 s[98:99], v197, v212                      // 0000000124A8: D0C90062 0003A9C5
	s_nop 0                                                    // 0000000124B0: BF800000
	v_cndmask_b32_e64 v31, v216, v31, s[98:99]                 // 0000000124B4: D100001F 018A3FD8
	v_add_u32_e32 v197, 0xc0, v196                             // 0000000124BC: 698B88FF 000000C0
	v_cmp_lt_u32_e64 s[98:99], v197, v212                      // 0000000124C4: D0C90062 0003A9C5
	s_nop 0                                                    // 0000000124CC: BF800000
	v_cndmask_b32_e64 v32, v216, v32, s[98:99]                 // 0000000124D0: D1000020 018A41D8
	v_add_u32_e32 v197, 0xc1, v196                             // 0000000124D8: 698B88FF 000000C1
	v_cmp_lt_u32_e64 s[98:99], v197, v212                      // 0000000124E0: D0C90062 0003A9C5
	s_nop 0                                                    // 0000000124E8: BF800000
	v_cndmask_b32_e64 v33, v216, v33, s[98:99]                 // 0000000124EC: D1000021 018A43D8
	v_add_u32_e32 v197, 0xc2, v196                             // 0000000124F4: 698B88FF 000000C2
	v_cmp_lt_u32_e64 s[98:99], v197, v212                      // 0000000124FC: D0C90062 0003A9C5
	s_nop 0                                                    // 000000012504: BF800000
	v_cndmask_b32_e64 v34, v216, v34, s[98:99]                 // 000000012508: D1000022 018A45D8
	v_add_u32_e32 v197, 0xc3, v196                             // 000000012510: 698B88FF 000000C3
	v_cmp_lt_u32_e64 s[98:99], v197, v212                      // 000000012518: D0C90062 0003A9C5
	s_nop 0                                                    // 000000012520: BF800000
	v_cndmask_b32_e64 v35, v216, v35, s[98:99]                 // 000000012524: D1000023 018A47D8
	v_add_u32_e32 v197, 0, v196                                // 00000001252C: 698B8880
	v_cmp_lt_u32_e64 s[98:99], v197, v213                      // 000000012530: D0C90062 0003ABC5
	s_nop 0                                                    // 000000012538: BF800000
	v_cndmask_b32_e64 v36, v216, v36, s[98:99]                 // 00000001253C: D1000024 018A49D8
	v_add_u32_e32 v197, 1, v196                                // 000000012544: 698B8881
	v_cmp_lt_u32_e64 s[98:99], v197, v213                      // 000000012548: D0C90062 0003ABC5
	s_nop 0                                                    // 000000012550: BF800000
	v_cndmask_b32_e64 v37, v216, v37, s[98:99]                 // 000000012554: D1000025 018A4BD8
	v_add_u32_e32 v197, 2, v196                                // 00000001255C: 698B8882
	v_cmp_lt_u32_e64 s[98:99], v197, v213                      // 000000012560: D0C90062 0003ABC5
	s_nop 0                                                    // 000000012568: BF800000
	v_cndmask_b32_e64 v38, v216, v38, s[98:99]                 // 00000001256C: D1000026 018A4DD8
	v_add_u32_e32 v197, 3, v196                                // 000000012574: 698B8883
	v_cmp_lt_u32_e64 s[98:99], v197, v213                      // 000000012578: D0C90062 0003ABC5
	s_nop 0                                                    // 000000012580: BF800000
	v_cndmask_b32_e64 v39, v216, v39, s[98:99]                 // 000000012584: D1000027 018A4FD8
	v_add_u32_e32 v197, 64, v196                               // 00000001258C: 698B88C0
	v_cmp_lt_u32_e64 s[98:99], v197, v213                      // 000000012590: D0C90062 0003ABC5
	s_nop 0                                                    // 000000012598: BF800000
	v_cndmask_b32_e64 v40, v216, v40, s[98:99]                 // 00000001259C: D1000028 018A51D8
	v_add_u32_e32 v197, 0x41, v196                             // 0000000125A4: 698B88FF 00000041
	v_cmp_lt_u32_e64 s[98:99], v197, v213                      // 0000000125AC: D0C90062 0003ABC5
	s_nop 0                                                    // 0000000125B4: BF800000
	v_cndmask_b32_e64 v41, v216, v41, s[98:99]                 // 0000000125B8: D1000029 018A53D8
	v_add_u32_e32 v197, 0x42, v196                             // 0000000125C0: 698B88FF 00000042
	v_cmp_lt_u32_e64 s[98:99], v197, v213                      // 0000000125C8: D0C90062 0003ABC5
	s_nop 0                                                    // 0000000125D0: BF800000
	v_cndmask_b32_e64 v42, v216, v42, s[98:99]                 // 0000000125D4: D100002A 018A55D8
	v_add_u32_e32 v197, 0x43, v196                             // 0000000125DC: 698B88FF 00000043
	v_cmp_lt_u32_e64 s[98:99], v197, v213                      // 0000000125E4: D0C90062 0003ABC5
	s_nop 0                                                    // 0000000125EC: BF800000
	v_cndmask_b32_e64 v43, v216, v43, s[98:99]                 // 0000000125F0: D100002B 018A57D8
	v_add_u32_e32 v197, 0x80, v196                             // 0000000125F8: 698B88FF 00000080
	v_cmp_lt_u32_e64 s[98:99], v197, v213                      // 000000012600: D0C90062 0003ABC5
	s_nop 0                                                    // 000000012608: BF800000
	v_cndmask_b32_e64 v44, v216, v44, s[98:99]                 // 00000001260C: D100002C 018A59D8
	v_add_u32_e32 v197, 0x81, v196                             // 000000012614: 698B88FF 00000081
	v_cmp_lt_u32_e64 s[98:99], v197, v213                      // 00000001261C: D0C90062 0003ABC5
	s_nop 0                                                    // 000000012624: BF800000
	v_cndmask_b32_e64 v45, v216, v45, s[98:99]                 // 000000012628: D100002D 018A5BD8
	v_add_u32_e32 v197, 0x82, v196                             // 000000012630: 698B88FF 00000082
	v_cmp_lt_u32_e64 s[98:99], v197, v213                      // 000000012638: D0C90062 0003ABC5
	s_nop 0                                                    // 000000012640: BF800000
	v_cndmask_b32_e64 v46, v216, v46, s[98:99]                 // 000000012644: D100002E 018A5DD8
	v_add_u32_e32 v197, 0x83, v196                             // 00000001264C: 698B88FF 00000083
	v_cmp_lt_u32_e64 s[98:99], v197, v213                      // 000000012654: D0C90062 0003ABC5
	s_nop 0                                                    // 00000001265C: BF800000
	v_cndmask_b32_e64 v47, v216, v47, s[98:99]                 // 000000012660: D100002F 018A5FD8
	v_add_u32_e32 v197, 0xc0, v196                             // 000000012668: 698B88FF 000000C0
	v_cmp_lt_u32_e64 s[98:99], v197, v213                      // 000000012670: D0C90062 0003ABC5
	s_nop 0                                                    // 000000012678: BF800000
	v_cndmask_b32_e64 v48, v216, v48, s[98:99]                 // 00000001267C: D1000030 018A61D8
	v_add_u32_e32 v197, 0xc1, v196                             // 000000012684: 698B88FF 000000C1
	v_cmp_lt_u32_e64 s[98:99], v197, v213                      // 00000001268C: D0C90062 0003ABC5
	s_nop 0                                                    // 000000012694: BF800000
	v_cndmask_b32_e64 v49, v216, v49, s[98:99]                 // 000000012698: D1000031 018A63D8
	v_add_u32_e32 v197, 0xc2, v196                             // 0000000126A0: 698B88FF 000000C2
	v_cmp_lt_u32_e64 s[98:99], v197, v213                      // 0000000126A8: D0C90062 0003ABC5
	s_nop 0                                                    // 0000000126B0: BF800000
	v_cndmask_b32_e64 v50, v216, v50, s[98:99]                 // 0000000126B4: D1000032 018A65D8
	v_add_u32_e32 v197, 0xc3, v196                             // 0000000126BC: 698B88FF 000000C3
	v_cmp_lt_u32_e64 s[98:99], v197, v213                      // 0000000126C4: D0C90062 0003ABC5
	s_nop 0                                                    // 0000000126CC: BF800000
	v_cndmask_b32_e64 v51, v216, v51, s[98:99]                 // 0000000126D0: D1000033 018A67D8
	v_add_u32_e32 v197, 0, v196                                // 0000000126D8: 698B8880
	v_cmp_lt_u32_e64 s[98:99], v197, v214                      // 0000000126DC: D0C90062 0003ADC5
	s_nop 0                                                    // 0000000126E4: BF800000
	v_cndmask_b32_e64 v52, v216, v52, s[98:99]                 // 0000000126E8: D1000034 018A69D8
	v_add_u32_e32 v197, 1, v196                                // 0000000126F0: 698B8881
	v_cmp_lt_u32_e64 s[98:99], v197, v214                      // 0000000126F4: D0C90062 0003ADC5
	s_nop 0                                                    // 0000000126FC: BF800000
	v_cndmask_b32_e64 v53, v216, v53, s[98:99]                 // 000000012700: D1000035 018A6BD8
	v_add_u32_e32 v197, 2, v196                                // 000000012708: 698B8882
	v_cmp_lt_u32_e64 s[98:99], v197, v214                      // 00000001270C: D0C90062 0003ADC5
	s_nop 0                                                    // 000000012714: BF800000
	v_cndmask_b32_e64 v54, v216, v54, s[98:99]                 // 000000012718: D1000036 018A6DD8
	v_add_u32_e32 v197, 3, v196                                // 000000012720: 698B8883
	v_cmp_lt_u32_e64 s[98:99], v197, v214                      // 000000012724: D0C90062 0003ADC5
	s_nop 0                                                    // 00000001272C: BF800000
	v_cndmask_b32_e64 v55, v216, v55, s[98:99]                 // 000000012730: D1000037 018A6FD8
	v_add_u32_e32 v197, 64, v196                               // 000000012738: 698B88C0
	v_cmp_lt_u32_e64 s[98:99], v197, v214                      // 00000001273C: D0C90062 0003ADC5
	s_nop 0                                                    // 000000012744: BF800000
	v_cndmask_b32_e64 v56, v216, v56, s[98:99]                 // 000000012748: D1000038 018A71D8
	v_add_u32_e32 v197, 0x41, v196                             // 000000012750: 698B88FF 00000041
	v_cmp_lt_u32_e64 s[98:99], v197, v214                      // 000000012758: D0C90062 0003ADC5
	s_nop 0                                                    // 000000012760: BF800000
	v_cndmask_b32_e64 v57, v216, v57, s[98:99]                 // 000000012764: D1000039 018A73D8
	v_add_u32_e32 v197, 0x42, v196                             // 00000001276C: 698B88FF 00000042
	v_cmp_lt_u32_e64 s[98:99], v197, v214                      // 000000012774: D0C90062 0003ADC5
	s_nop 0                                                    // 00000001277C: BF800000
	v_cndmask_b32_e64 v58, v216, v58, s[98:99]                 // 000000012780: D100003A 018A75D8
	v_add_u32_e32 v197, 0x43, v196                             // 000000012788: 698B88FF 00000043
	v_cmp_lt_u32_e64 s[98:99], v197, v214                      // 000000012790: D0C90062 0003ADC5
	s_nop 0                                                    // 000000012798: BF800000
	v_cndmask_b32_e64 v59, v216, v59, s[98:99]                 // 00000001279C: D100003B 018A77D8
	v_add_u32_e32 v197, 0x80, v196                             // 0000000127A4: 698B88FF 00000080
	v_cmp_lt_u32_e64 s[98:99], v197, v214                      // 0000000127AC: D0C90062 0003ADC5
	s_nop 0                                                    // 0000000127B4: BF800000
	v_cndmask_b32_e64 v60, v216, v60, s[98:99]                 // 0000000127B8: D100003C 018A79D8
	v_add_u32_e32 v197, 0x81, v196                             // 0000000127C0: 698B88FF 00000081
	v_cmp_lt_u32_e64 s[98:99], v197, v214                      // 0000000127C8: D0C90062 0003ADC5
	s_nop 0                                                    // 0000000127D0: BF800000
	v_cndmask_b32_e64 v61, v216, v61, s[98:99]                 // 0000000127D4: D100003D 018A7BD8
	v_add_u32_e32 v197, 0x82, v196                             // 0000000127DC: 698B88FF 00000082
	v_cmp_lt_u32_e64 s[98:99], v197, v214                      // 0000000127E4: D0C90062 0003ADC5
	s_nop 0                                                    // 0000000127EC: BF800000
	v_cndmask_b32_e64 v62, v216, v62, s[98:99]                 // 0000000127F0: D100003E 018A7DD8
	v_add_u32_e32 v197, 0x83, v196                             // 0000000127F8: 698B88FF 00000083
	v_cmp_lt_u32_e64 s[98:99], v197, v214                      // 000000012800: D0C90062 0003ADC5
	s_nop 0                                                    // 000000012808: BF800000
	v_cndmask_b32_e64 v63, v216, v63, s[98:99]                 // 00000001280C: D100003F 018A7FD8
	v_add_u32_e32 v197, 0xc0, v196                             // 000000012814: 698B88FF 000000C0
	v_cmp_lt_u32_e64 s[98:99], v197, v214                      // 00000001281C: D0C90062 0003ADC5
	s_nop 0                                                    // 000000012824: BF800000
	v_cndmask_b32_e64 v64, v216, v64, s[98:99]                 // 000000012828: D1000040 018A81D8
	v_add_u32_e32 v197, 0xc1, v196                             // 000000012830: 698B88FF 000000C1
	v_cmp_lt_u32_e64 s[98:99], v197, v214                      // 000000012838: D0C90062 0003ADC5
	s_nop 0                                                    // 000000012840: BF800000
	v_cndmask_b32_e64 v65, v216, v65, s[98:99]                 // 000000012844: D1000041 018A83D8
	v_add_u32_e32 v197, 0xc2, v196                             // 00000001284C: 698B88FF 000000C2
	v_cmp_lt_u32_e64 s[98:99], v197, v214                      // 000000012854: D0C90062 0003ADC5
	s_nop 0                                                    // 00000001285C: BF800000
	v_cndmask_b32_e64 v66, v216, v66, s[98:99]                 // 000000012860: D1000042 018A85D8
	v_add_u32_e32 v197, 0xc3, v196                             // 000000012868: 698B88FF 000000C3
	v_cmp_lt_u32_e64 s[98:99], v197, v214                      // 000000012870: D0C90062 0003ADC5
	s_nop 0                                                    // 000000012878: BF800000
	v_cndmask_b32_e64 v67, v216, v67, s[98:99]                 // 00000001287C: D1000043 018A87D8
	v_mov_b32_e32 v176, v4                                     // 000000012884: 7F600304
	v_max3_f32 v176, v4, v5, v176                              // 000000012888: D1D300B0 06C20B04
	v_max3_f32 v176, v6, v7, v176                              // 000000012890: D1D300B0 06C20F06
	v_max3_f32 v176, v8, v9, v176                              // 000000012898: D1D300B0 06C21308
	v_max3_f32 v176, v10, v11, v176                            // 0000000128A0: D1D300B0 06C2170A
	v_max3_f32 v176, v12, v13, v176                            // 0000000128A8: D1D300B0 06C21B0C
	v_max3_f32 v176, v14, v15, v176                            // 0000000128B0: D1D300B0 06C21F0E
	v_max3_f32 v176, v16, v17, v176                            // 0000000128B8: D1D300B0 06C22310
	v_max3_f32 v176, v18, v19, v176                            // 0000000128C0: D1D300B0 06C22712
	v_mov_b32_e32 v177, v20                                    // 0000000128C8: 7F620314
	v_max3_f32 v177, v20, v21, v177                            // 0000000128CC: D1D300B1 06C62B14
	v_max3_f32 v177, v22, v23, v177                            // 0000000128D4: D1D300B1 06C62F16
	v_max3_f32 v177, v24, v25, v177                            // 0000000128DC: D1D300B1 06C63318
	v_max3_f32 v177, v26, v27, v177                            // 0000000128E4: D1D300B1 06C6371A
	v_max3_f32 v177, v28, v29, v177                            // 0000000128EC: D1D300B1 06C63B1C
	v_max3_f32 v177, v30, v31, v177                            // 0000000128F4: D1D300B1 06C63F1E
	v_max3_f32 v177, v32, v33, v177                            // 0000000128FC: D1D300B1 06C64320
	v_max3_f32 v177, v34, v35, v177                            // 000000012904: D1D300B1 06C64722
	v_mov_b32_e32 v178, v36                                    // 00000001290C: 7F640324
	v_max3_f32 v178, v36, v37, v178                            // 000000012910: D1D300B2 06CA4B24
	v_max3_f32 v178, v38, v39, v178                            // 000000012918: D1D300B2 06CA4F26
	v_max3_f32 v178, v40, v41, v178                            // 000000012920: D1D300B2 06CA5328
	v_max3_f32 v178, v42, v43, v178                            // 000000012928: D1D300B2 06CA572A
	v_max3_f32 v178, v44, v45, v178                            // 000000012930: D1D300B2 06CA5B2C
	v_max3_f32 v178, v46, v47, v178                            // 000000012938: D1D300B2 06CA5F2E
	v_max3_f32 v178, v48, v49, v178                            // 000000012940: D1D300B2 06CA6330
	v_max3_f32 v178, v50, v51, v178                            // 000000012948: D1D300B2 06CA6732
	v_mov_b32_e32 v179, v52                                    // 000000012950: 7F660334
	v_max3_f32 v179, v52, v53, v179                            // 000000012954: D1D300B3 06CE6B34
	v_max3_f32 v179, v54, v55, v179                            // 00000001295C: D1D300B3 06CE6F36
	v_max3_f32 v179, v56, v57, v179                            // 000000012964: D1D300B3 06CE7338
	v_max3_f32 v179, v58, v59, v179                            // 00000001296C: D1D300B3 06CE773A
	v_max3_f32 v179, v60, v61, v179                            // 000000012974: D1D300B3 06CE7B3C
	v_max3_f32 v179, v62, v63, v179                            // 00000001297C: D1D300B3 06CE7F3E
	v_max3_f32 v179, v64, v65, v179                            // 000000012984: D1D300B3 06CE8340
	v_max3_f32 v179, v66, v67, v179                            // 00000001298C: D1D300B3 06CE8742
	ds_bpermute_b32 v180, v200, v176                           // 000000012994: D87E0000 B400B0C8
	ds_bpermute_b32 v181, v201, v176                           // 00000001299C: D87E0000 B500B0C9
	ds_bpermute_b32 v182, v202, v176                           // 0000000129A4: D87E0000 B600B0CA
	ds_bpermute_b32 v183, v200, v177                           // 0000000129AC: D87E0000 B700B1C8
	ds_bpermute_b32 v184, v201, v177                           // 0000000129B4: D87E0000 B800B1C9
	ds_bpermute_b32 v185, v202, v177                           // 0000000129BC: D87E0000 B900B1CA
	ds_bpermute_b32 v186, v200, v178                           // 0000000129C4: D87E0000 BA00B2C8
	ds_bpermute_b32 v187, v201, v178                           // 0000000129CC: D87E0000 BB00B2C9
	ds_bpermute_b32 v188, v202, v178                           // 0000000129D4: D87E0000 BC00B2CA
	ds_bpermute_b32 v189, v200, v179                           // 0000000129DC: D87E0000 BD00B3C8
	ds_bpermute_b32 v190, v201, v179                           // 0000000129E4: D87E0000 BE00B3C9
	ds_bpermute_b32 v191, v202, v179                           // 0000000129EC: D87E0000 BF00B3CA
	v_pk_mul_f32 v[100:101], v[160:161], v[100:101]            // 0000000129F4: D3B14064 1802C9A0
	v_pk_mul_f32 v[102:103], v[160:161], v[102:103]            // 0000000129FC: D3B14066 1802CDA0
	v_pk_mul_f32 v[104:105], v[160:161], v[104:105]            // 000000012A04: D3B14068 1802D1A0
	v_pk_mul_f32 v[106:107], v[160:161], v[106:107]            // 000000012A0C: D3B1406A 1802D5A0
	v_pk_mul_f32 v[108:109], v[162:163], v[108:109]            // 000000012A14: D3B1406C 1802D9A2
	v_pk_mul_f32 v[110:111], v[162:163], v[110:111]            // 000000012A1C: D3B1406E 1802DDA2
	v_pk_mul_f32 v[112:113], v[162:163], v[112:113]            // 000000012A24: D3B14070 1802E1A2
	v_pk_mul_f32 v[114:115], v[162:163], v[114:115]            // 000000012A2C: D3B14072 1802E5A2
	v_pk_mul_f32 v[116:117], v[164:165], v[116:117]            // 000000012A34: D3B14074 1802E9A4
	v_pk_mul_f32 v[118:119], v[164:165], v[118:119]            // 000000012A3C: D3B14076 1802EDA4
	v_pk_mul_f32 v[120:121], v[164:165], v[120:121]            // 000000012A44: D3B14078 1802F1A4
	v_pk_mul_f32 v[122:123], v[164:165], v[122:123]            // 000000012A4C: D3B1407A 1802F5A4
	v_pk_mul_f32 v[124:125], v[166:167], v[124:125]            // 000000012A54: D3B1407C 1802F9A6
	v_pk_mul_f32 v[126:127], v[166:167], v[126:127]            // 000000012A5C: D3B1407E 1802FDA6
	v_pk_mul_f32 v[128:129], v[166:167], v[128:129]            // 000000012A64: D3B14080 180301A6
	v_pk_mul_f32 v[130:131], v[166:167], v[130:131]            // 000000012A6C: D3B14082 180305A6
	s_waitcnt lgkmcnt(9)                                       // 000000012A74: BF8CC97F
	v_max3_f32 v176, v180, v181, v176                          // 000000012A78: D1D300B0 06C36BB4
	v_max_f32_e32 v176, v182, v176                             // 000000012A80: 176161B6
	s_waitcnt lgkmcnt(6)                                       // 000000012A84: BF8CC67F
	v_max3_f32 v177, v183, v184, v177                          // 000000012A88: D1D300B1 06C771B7
	v_max_f32_e32 v177, v185, v177                             // 000000012A90: 176363B9
	s_waitcnt lgkmcnt(3)                                       // 000000012A94: BF8CC37F
	v_max3_f32 v178, v186, v187, v178                          // 000000012A98: D1D300B2 06CB77BA
	v_max_f32_e32 v178, v188, v178                             // 000000012AA0: 176565BC
	s_waitcnt lgkmcnt(0)                                       // 000000012AA4: BF8CC07F
	v_max3_f32 v179, v189, v190, v179                          // 000000012AA8: D1D300B3 06CF7DBD
	v_max_f32_e32 v179, v191, v179                             // 000000012AB0: 176767BF
	ds_write_b128 v247, v[176:179]                             // 000000012AB4: D9BE0000 0000B0F7
	s_waitcnt lgkmcnt(0)                                       // 000000012ABC: BF8CC07F
	s_barrier                                                  // 000000012AC0: BF8A0000
	ds_read_b128 v[180:183], v248                              // 000000012AC4: D9FE0000 B40000F8
	ds_read_b128 v[184:187], v248 offset:256                   // 000000012ACC: D9FE0100 B80000F8
	ds_read_b128 v[188:191], v248 offset:512                   // 000000012AD4: D9FE0200 BC0000F8
	ds_read_b128 v[192:195], v248 offset:768                   // 000000012ADC: D9FE0300 C00000F8
	v_pk_mul_f32 v[68:69], v[144:145], v[68:69]                // 000000012AE4: D3B14044 18028990
	v_pk_mul_f32 v[70:71], v[144:145], v[70:71]                // 000000012AEC: D3B14046 18028D90
	v_pk_mul_f32 v[72:73], v[144:145], v[72:73]                // 000000012AF4: D3B14048 18029190
	v_pk_mul_f32 v[74:75], v[144:145], v[74:75]                // 000000012AFC: D3B1404A 18029590
	v_pk_mul_f32 v[76:77], v[146:147], v[76:77]                // 000000012B04: D3B1404C 18029992
	v_pk_mul_f32 v[78:79], v[146:147], v[78:79]                // 000000012B0C: D3B1404E 18029D92
	v_pk_mul_f32 v[80:81], v[146:147], v[80:81]                // 000000012B14: D3B14050 1802A192
	v_pk_mul_f32 v[82:83], v[146:147], v[82:83]                // 000000012B1C: D3B14052 1802A592
	v_pk_mul_f32 v[84:85], v[148:149], v[84:85]                // 000000012B24: D3B14054 1802A994
	v_pk_mul_f32 v[86:87], v[148:149], v[86:87]                // 000000012B2C: D3B14056 1802AD94
	v_pk_mul_f32 v[88:89], v[148:149], v[88:89]                // 000000012B34: D3B14058 1802B194
	v_pk_mul_f32 v[90:91], v[148:149], v[90:91]                // 000000012B3C: D3B1405A 1802B594
	v_pk_mul_f32 v[92:93], v[150:151], v[92:93]                // 000000012B44: D3B1405C 1802B996
	v_pk_mul_f32 v[94:95], v[150:151], v[94:95]                // 000000012B4C: D3B1405E 1802BD96
	v_pk_mul_f32 v[96:97], v[150:151], v[96:97]                // 000000012B54: D3B14060 1802C196
	v_pk_mul_f32 v[98:99], v[150:151], v[98:99]                // 000000012B5C: D3B14062 1802C596
	s_waitcnt lgkmcnt(0)                                       // 000000012B64: BF8CC07F
	v_max3_f32 v176, v180, v184, v176                          // 000000012B68: D1D300B0 06C371B4
	v_max3_f32 v177, v181, v185, v177                          // 000000012B70: D1D300B1 06C773B5
	v_max3_f32 v178, v182, v186, v178                          // 000000012B78: D1D300B2 06CB75B6
	v_max3_f32 v179, v183, v187, v179                          // 000000012B80: D1D300B3 06CF77B7
	v_max3_f32 v176, v188, v192, v176                          // 000000012B88: D1D300B0 06C381BC
	v_max3_f32 v177, v189, v193, v177                          // 000000012B90: D1D300B1 06C783BD
	v_max3_f32 v178, v190, v194, v178                          // 000000012B98: D1D300B2 06CB85BE
	v_max3_f32 v179, v191, v195, v179                          // 000000012BA0: D1D300B3 06CF87BF
	v_max_f32_e32 v156, v176, v152                             // 000000012BA8: 173931B0
	v_mul_f32_e64 v196, -s46, v156                             // 000000012BAC: D10500C4 2003382E
	v_mov_b32_e32 v197, v196                                   // 000000012BB4: 7F8A03C4
	v_pk_fma_f32 v[4:5], v[4:5], s[46:47], v[196:197]          // 000000012BB8: D3B04004 1F105D04
	v_pk_fma_f32 v[6:7], v[6:7], s[46:47], v[196:197]          // 000000012BC0: D3B04006 1F105D06
	v_exp_f32_e32 v4, v4                                       // 000000012BC8: 7E084104
	v_exp_f32_e32 v5, v5                                       // 000000012BCC: 7E0A4105
	v_exp_f32_e32 v6, v6                                       // 000000012BD0: 7E0C4106
	v_exp_f32_e32 v7, v7                                       // 000000012BD4: 7E0E4107
	v_pk_fma_f32 v[8:9], v[8:9], s[46:47], v[196:197]          // 000000012BD8: D3B04008 1F105D08
	v_pk_fma_f32 v[10:11], v[10:11], s[46:47], v[196:197]      // 000000012BE0: D3B0400A 1F105D0A
	v_exp_f32_e32 v8, v8                                       // 000000012BE8: 7E104108
	v_exp_f32_e32 v9, v9                                       // 000000012BEC: 7E124109
	v_exp_f32_e32 v10, v10                                     // 000000012BF0: 7E14410A
	v_exp_f32_e32 v11, v11                                     // 000000012BF4: 7E16410B
	v_pk_fma_f32 v[12:13], v[12:13], s[46:47], v[196:197]      // 000000012BF8: D3B0400C 1F105D0C
	v_pk_fma_f32 v[14:15], v[14:15], s[46:47], v[196:197]      // 000000012C00: D3B0400E 1F105D0E
	v_exp_f32_e32 v12, v12                                     // 000000012C08: 7E18410C
	v_exp_f32_e32 v13, v13                                     // 000000012C0C: 7E1A410D
	v_exp_f32_e32 v14, v14                                     // 000000012C10: 7E1C410E
	v_exp_f32_e32 v15, v15                                     // 000000012C14: 7E1E410F
	v_pk_fma_f32 v[16:17], v[16:17], s[46:47], v[196:197]      // 000000012C18: D3B04010 1F105D10
	v_pk_fma_f32 v[18:19], v[18:19], s[46:47], v[196:197]      // 000000012C20: D3B04012 1F105D12
	v_exp_f32_e32 v16, v16                                     // 000000012C28: 7E204110
	v_exp_f32_e32 v17, v17                                     // 000000012C2C: 7E224111
	v_exp_f32_e32 v18, v18                                     // 000000012C30: 7E244112
	v_exp_f32_e32 v19, v19                                     // 000000012C34: 7E264113
	v_max_f32_e32 v157, v177, v153                             // 000000012C38: 173B33B1
	v_mul_f32_e64 v196, -s46, v157                             // 000000012C3C: D10500C4 20033A2E
	v_mov_b32_e32 v197, v196                                   // 000000012C44: 7F8A03C4
	v_pk_fma_f32 v[20:21], v[20:21], s[46:47], v[196:197]      // 000000012C48: D3B04014 1F105D14
	v_pk_fma_f32 v[22:23], v[22:23], s[46:47], v[196:197]      // 000000012C50: D3B04016 1F105D16
	v_exp_f32_e32 v20, v20                                     // 000000012C58: 7E284114
	v_exp_f32_e32 v21, v21                                     // 000000012C5C: 7E2A4115
	v_exp_f32_e32 v22, v22                                     // 000000012C60: 7E2C4116
	v_exp_f32_e32 v23, v23                                     // 000000012C64: 7E2E4117
	v_pk_fma_f32 v[24:25], v[24:25], s[46:47], v[196:197]      // 000000012C68: D3B04018 1F105D18
	v_pk_fma_f32 v[26:27], v[26:27], s[46:47], v[196:197]      // 000000012C70: D3B0401A 1F105D1A
	v_exp_f32_e32 v24, v24                                     // 000000012C78: 7E304118
	v_exp_f32_e32 v25, v25                                     // 000000012C7C: 7E324119
	v_exp_f32_e32 v26, v26                                     // 000000012C80: 7E34411A
	v_exp_f32_e32 v27, v27                                     // 000000012C84: 7E36411B
	v_pk_fma_f32 v[28:29], v[28:29], s[46:47], v[196:197]      // 000000012C88: D3B0401C 1F105D1C
	v_pk_fma_f32 v[30:31], v[30:31], s[46:47], v[196:197]      // 000000012C90: D3B0401E 1F105D1E
	v_exp_f32_e32 v28, v28                                     // 000000012C98: 7E38411C
	v_exp_f32_e32 v29, v29                                     // 000000012C9C: 7E3A411D
	v_exp_f32_e32 v30, v30                                     // 000000012CA0: 7E3C411E
	v_exp_f32_e32 v31, v31                                     // 000000012CA4: 7E3E411F
	v_pk_fma_f32 v[32:33], v[32:33], s[46:47], v[196:197]      // 000000012CA8: D3B04020 1F105D20
	v_pk_fma_f32 v[34:35], v[34:35], s[46:47], v[196:197]      // 000000012CB0: D3B04022 1F105D22
	v_exp_f32_e32 v32, v32                                     // 000000012CB8: 7E404120
	v_exp_f32_e32 v33, v33                                     // 000000012CBC: 7E424121
	v_exp_f32_e32 v34, v34                                     // 000000012CC0: 7E444122
	v_exp_f32_e32 v35, v35                                     // 000000012CC4: 7E464123
	v_max_f32_e32 v158, v178, v154                             // 000000012CC8: 173D35B2
	v_mul_f32_e64 v196, -s46, v158                             // 000000012CCC: D10500C4 20033C2E
	v_mov_b32_e32 v197, v196                                   // 000000012CD4: 7F8A03C4
	v_pk_fma_f32 v[36:37], v[36:37], s[46:47], v[196:197]      // 000000012CD8: D3B04024 1F105D24
	v_pk_fma_f32 v[38:39], v[38:39], s[46:47], v[196:197]      // 000000012CE0: D3B04026 1F105D26
	v_exp_f32_e32 v36, v36                                     // 000000012CE8: 7E484124
	v_exp_f32_e32 v37, v37                                     // 000000012CEC: 7E4A4125
	v_exp_f32_e32 v38, v38                                     // 000000012CF0: 7E4C4126
	v_exp_f32_e32 v39, v39                                     // 000000012CF4: 7E4E4127
	v_pk_fma_f32 v[40:41], v[40:41], s[46:47], v[196:197]      // 000000012CF8: D3B04028 1F105D28
	v_pk_fma_f32 v[42:43], v[42:43], s[46:47], v[196:197]      // 000000012D00: D3B0402A 1F105D2A
	v_exp_f32_e32 v40, v40                                     // 000000012D08: 7E504128
	v_exp_f32_e32 v41, v41                                     // 000000012D0C: 7E524129
	v_exp_f32_e32 v42, v42                                     // 000000012D10: 7E54412A
	v_exp_f32_e32 v43, v43                                     // 000000012D14: 7E56412B
	v_pk_fma_f32 v[44:45], v[44:45], s[46:47], v[196:197]      // 000000012D18: D3B0402C 1F105D2C
	v_pk_fma_f32 v[46:47], v[46:47], s[46:47], v[196:197]      // 000000012D20: D3B0402E 1F105D2E
	v_exp_f32_e32 v44, v44                                     // 000000012D28: 7E58412C
	v_exp_f32_e32 v45, v45                                     // 000000012D2C: 7E5A412D
	v_exp_f32_e32 v46, v46                                     // 000000012D30: 7E5C412E
	v_exp_f32_e32 v47, v47                                     // 000000012D34: 7E5E412F
	v_pk_fma_f32 v[48:49], v[48:49], s[46:47], v[196:197]      // 000000012D38: D3B04030 1F105D30
	v_pk_fma_f32 v[50:51], v[50:51], s[46:47], v[196:197]      // 000000012D40: D3B04032 1F105D32
	v_exp_f32_e32 v48, v48                                     // 000000012D48: 7E604130
	v_exp_f32_e32 v49, v49                                     // 000000012D4C: 7E624131
	v_exp_f32_e32 v50, v50                                     // 000000012D50: 7E644132
	v_exp_f32_e32 v51, v51                                     // 000000012D54: 7E664133
	v_max_f32_e32 v159, v179, v155                             // 000000012D58: 173F37B3
	v_mul_f32_e64 v196, -s46, v159                             // 000000012D5C: D10500C4 20033E2E
	v_mov_b32_e32 v197, v196                                   // 000000012D64: 7F8A03C4
	v_pk_fma_f32 v[52:53], v[52:53], s[46:47], v[196:197]      // 000000012D68: D3B04034 1F105D34
	v_pk_fma_f32 v[54:55], v[54:55], s[46:47], v[196:197]      // 000000012D70: D3B04036 1F105D36
	v_exp_f32_e32 v52, v52                                     // 000000012D78: 7E684134
	v_exp_f32_e32 v53, v53                                     // 000000012D7C: 7E6A4135
	v_exp_f32_e32 v54, v54                                     // 000000012D80: 7E6C4136
	v_exp_f32_e32 v55, v55                                     // 000000012D84: 7E6E4137
	v_pk_fma_f32 v[56:57], v[56:57], s[46:47], v[196:197]      // 000000012D88: D3B04038 1F105D38
	v_pk_fma_f32 v[58:59], v[58:59], s[46:47], v[196:197]      // 000000012D90: D3B0403A 1F105D3A
	v_exp_f32_e32 v56, v56                                     // 000000012D98: 7E704138
	v_exp_f32_e32 v57, v57                                     // 000000012D9C: 7E724139
	v_exp_f32_e32 v58, v58                                     // 000000012DA0: 7E74413A
	v_exp_f32_e32 v59, v59                                     // 000000012DA4: 7E76413B
	v_pk_fma_f32 v[60:61], v[60:61], s[46:47], v[196:197]      // 000000012DA8: D3B0403C 1F105D3C
	v_pk_fma_f32 v[62:63], v[62:63], s[46:47], v[196:197]      // 000000012DB0: D3B0403E 1F105D3E
	v_exp_f32_e32 v60, v60                                     // 000000012DB8: 7E78413C
	v_exp_f32_e32 v61, v61                                     // 000000012DBC: 7E7A413D
	v_exp_f32_e32 v62, v62                                     // 000000012DC0: 7E7C413E
	v_exp_f32_e32 v63, v63                                     // 000000012DC4: 7E7E413F
	v_pk_fma_f32 v[64:65], v[64:65], s[46:47], v[196:197]      // 000000012DC8: D3B04040 1F105D40
	v_pk_fma_f32 v[66:67], v[66:67], s[46:47], v[196:197]      // 000000012DD0: D3B04042 1F105D42
	v_exp_f32_e32 v64, v64                                     // 000000012DD8: 7E804140
	v_exp_f32_e32 v65, v65                                     // 000000012DDC: 7E824141
	v_exp_f32_e32 v66, v66                                     // 000000012DE0: 7E844142
	v_exp_f32_e32 v67, v67                                     // 000000012DE4: 7E864143
	v_sub_f32_e32 v160, v152, v156                             // 000000012DE8: 05413998
	v_cmp_eq_u32_e64 s[98:99], v216, v152                      // 000000012DEC: D0CA0062 000331D8
	v_cndmask_b32_e64 v160, v160, 0, s[98:99]                  // 000000012DF4: D10000A0 018901A0
	v_mov_b32_e32 v152, v156                                   // 000000012DFC: 7F30039C
	v_mul_f32_e32 v160, s46, v160                              // 000000012E00: 0B41402E
	v_exp_f32_e32 v160, v160                                   // 000000012E04: 7F4041A0
	v_sub_f32_e32 v162, v153, v157                             // 000000012E08: 05453B99
	v_cmp_eq_u32_e64 s[98:99], v216, v153                      // 000000012E0C: D0CA0062 000333D8
	v_cndmask_b32_e64 v162, v162, 0, s[98:99]                  // 000000012E14: D10000A2 018901A2
	v_mov_b32_e32 v153, v157                                   // 000000012E1C: 7F32039D
	v_mul_f32_e32 v162, s46, v162                              // 000000012E20: 0B45442E
	v_exp_f32_e32 v162, v162                                   // 000000012E24: 7F4441A2
	v_sub_f32_e32 v164, v154, v158                             // 000000012E28: 05493D9A
	v_cmp_eq_u32_e64 s[98:99], v216, v154                      // 000000012E2C: D0CA0062 000335D8
	v_cndmask_b32_e64 v164, v164, 0, s[98:99]                  // 000000012E34: D10000A4 018901A4
	v_mov_b32_e32 v154, v158                                   // 000000012E3C: 7F34039E
	v_mul_f32_e32 v164, s46, v164                              // 000000012E40: 0B49482E
	v_exp_f32_e32 v164, v164                                   // 000000012E44: 7F4841A4
	v_sub_f32_e32 v166, v155, v159                             // 000000012E48: 054D3F9B
	v_cmp_eq_u32_e64 s[98:99], v216, v155                      // 000000012E4C: D0CA0062 000337D8
	v_cndmask_b32_e64 v166, v166, 0, s[98:99]                  // 000000012E54: D10000A6 018901A6
	v_mov_b32_e32 v155, v159                                   // 000000012E5C: 7F36039F
	v_mul_f32_e32 v166, s46, v166                              // 000000012E60: 0B4D4C2E
	v_exp_f32_e32 v166, v166                                   // 000000012E64: 7F4C41A6
	v_mov_b32_e32 v161, v160                                   // 000000012E68: 7F4203A0
	v_mov_b32_e32 v163, v162                                   // 000000012E6C: 7F4603A2
	v_mov_b32_e32 v165, v164                                   // 000000012E70: 7F4A03A4
	v_mov_b32_e32 v167, v166                                   // 000000012E74: 7F4E03A6
	v_mul_f32_e32 v168, v160, v168                             // 000000012E78: 0B5151A0
	v_mov_b32_e32 v169, 0                                      // 000000012E7C: 7F520280
	v_pk_add_f32 v[168:169], v[4:5], v[168:169]                // 000000012E80: D3B240A8 18035104
	v_pk_add_f32 v[168:169], v[6:7], v[168:169]                // 000000012E88: D3B240A8 18035106
	v_pk_add_f32 v[168:169], v[8:9], v[168:169]                // 000000012E90: D3B240A8 18035108
	v_pk_add_f32 v[168:169], v[10:11], v[168:169]              // 000000012E98: D3B240A8 1803510A
	v_pk_add_f32 v[168:169], v[12:13], v[168:169]              // 000000012EA0: D3B240A8 1803510C
	v_pk_add_f32 v[168:169], v[14:15], v[168:169]              // 000000012EA8: D3B240A8 1803510E
	v_pk_add_f32 v[168:169], v[16:17], v[168:169]              // 000000012EB0: D3B240A8 18035110
	v_pk_add_f32 v[168:169], v[18:19], v[168:169]              // 000000012EB8: D3B240A8 18035112
	v_add_f32_e32 v168, v169, v168                             // 000000012EC0: 035151A9
	v_mul_f32_e32 v170, v162, v170                             // 000000012EC4: 0B5555A2
	v_mov_b32_e32 v171, 0                                      // 000000012EC8: 7F560280
	v_pk_add_f32 v[170:171], v[20:21], v[170:171]              // 000000012ECC: D3B240AA 18035514
	v_pk_add_f32 v[170:171], v[22:23], v[170:171]              // 000000012ED4: D3B240AA 18035516
	v_pk_add_f32 v[170:171], v[24:25], v[170:171]              // 000000012EDC: D3B240AA 18035518
	v_pk_add_f32 v[170:171], v[26:27], v[170:171]              // 000000012EE4: D3B240AA 1803551A
	v_pk_add_f32 v[170:171], v[28:29], v[170:171]              // 000000012EEC: D3B240AA 1803551C
	v_pk_add_f32 v[170:171], v[30:31], v[170:171]              // 000000012EF4: D3B240AA 1803551E
	v_pk_add_f32 v[170:171], v[32:33], v[170:171]              // 000000012EFC: D3B240AA 18035520
	v_pk_add_f32 v[170:171], v[34:35], v[170:171]              // 000000012F04: D3B240AA 18035522
	v_add_f32_e32 v170, v171, v170                             // 000000012F0C: 035555AB
	v_mul_f32_e32 v172, v164, v172                             // 000000012F10: 0B5959A4
	v_mov_b32_e32 v173, 0                                      // 000000012F14: 7F5A0280
	v_pk_add_f32 v[172:173], v[36:37], v[172:173]              // 000000012F18: D3B240AC 18035924
	v_pk_add_f32 v[172:173], v[38:39], v[172:173]              // 000000012F20: D3B240AC 18035926
	v_pk_add_f32 v[172:173], v[40:41], v[172:173]              // 000000012F28: D3B240AC 18035928
	v_pk_add_f32 v[172:173], v[42:43], v[172:173]              // 000000012F30: D3B240AC 1803592A
	v_pk_add_f32 v[172:173], v[44:45], v[172:173]              // 000000012F38: D3B240AC 1803592C
	v_pk_add_f32 v[172:173], v[46:47], v[172:173]              // 000000012F40: D3B240AC 1803592E
	v_pk_add_f32 v[172:173], v[48:49], v[172:173]              // 000000012F48: D3B240AC 18035930
	v_pk_add_f32 v[172:173], v[50:51], v[172:173]              // 000000012F50: D3B240AC 18035932
	v_add_f32_e32 v172, v173, v172                             // 000000012F58: 035959AD
	v_mul_f32_e32 v174, v166, v174                             // 000000012F5C: 0B5D5DA6
	v_mov_b32_e32 v175, 0                                      // 000000012F60: 7F5E0280
	v_pk_add_f32 v[174:175], v[52:53], v[174:175]              // 000000012F64: D3B240AE 18035D34
	v_pk_add_f32 v[174:175], v[54:55], v[174:175]              // 000000012F6C: D3B240AE 18035D36
	v_pk_add_f32 v[174:175], v[56:57], v[174:175]              // 000000012F74: D3B240AE 18035D38
	v_pk_add_f32 v[174:175], v[58:59], v[174:175]              // 000000012F7C: D3B240AE 18035D3A
	v_pk_add_f32 v[174:175], v[60:61], v[174:175]              // 000000012F84: D3B240AE 18035D3C
	v_pk_add_f32 v[174:175], v[62:63], v[174:175]              // 000000012F8C: D3B240AE 18035D3E
	v_pk_add_f32 v[174:175], v[64:65], v[174:175]              // 000000012F94: D3B240AE 18035D40
	v_pk_add_f32 v[174:175], v[66:67], v[174:175]              // 000000012F9C: D3B240AE 18035D42
	v_add_f32_e32 v174, v175, v174                             // 000000012FA4: 035D5DAF
	v_mul_f32_dpp v4, v143, v4 row_newbcast:0 row_mask:0xf bank_mask:0xf// 000000012FA8: 0A0808FA FF01508F
	v_mul_f32_dpp v5, v143, v5 row_newbcast:1 row_mask:0xf bank_mask:0xf// 000000012FB0: 0A0A0AFA FF01518F
	v_mul_f32_dpp v6, v143, v6 row_newbcast:2 row_mask:0xf bank_mask:0xf// 000000012FB8: 0A0C0CFA FF01528F
	v_mul_f32_dpp v7, v143, v7 row_newbcast:3 row_mask:0xf bank_mask:0xf// 000000012FC0: 0A0E0EFA FF01538F
	v_mul_f32_dpp v8, v143, v8 row_newbcast:4 row_mask:0xf bank_mask:0xf// 000000012FC8: 0A1010FA FF01548F
	v_mul_f32_dpp v9, v143, v9 row_newbcast:5 row_mask:0xf bank_mask:0xf// 000000012FD0: 0A1212FA FF01558F
	v_mul_f32_dpp v10, v143, v10 row_newbcast:6 row_mask:0xf bank_mask:0xf// 000000012FD8: 0A1414FA FF01568F
	v_mul_f32_dpp v11, v143, v11 row_newbcast:7 row_mask:0xf bank_mask:0xf// 000000012FE0: 0A1616FA FF01578F
	v_mul_f32_dpp v12, v143, v12 row_newbcast:8 row_mask:0xf bank_mask:0xf// 000000012FE8: 0A1818FA FF01588F
	v_mul_f32_dpp v13, v143, v13 row_newbcast:9 row_mask:0xf bank_mask:0xf// 000000012FF0: 0A1A1AFA FF01598F
	v_mul_f32_dpp v14, v143, v14 row_newbcast:10 row_mask:0xf bank_mask:0xf// 000000012FF8: 0A1C1CFA FF015A8F
	v_mul_f32_dpp v15, v143, v15 row_newbcast:11 row_mask:0xf bank_mask:0xf// 000000013000: 0A1E1EFA FF015B8F
	v_mul_f32_dpp v16, v143, v16 row_newbcast:12 row_mask:0xf bank_mask:0xf// 000000013008: 0A2020FA FF015C8F
	v_mul_f32_dpp v17, v143, v17 row_newbcast:13 row_mask:0xf bank_mask:0xf// 000000013010: 0A2222FA FF015D8F
	v_mul_f32_dpp v18, v143, v18 row_newbcast:14 row_mask:0xf bank_mask:0xf// 000000013018: 0A2424FA FF015E8F
	v_mul_f32_dpp v19, v143, v19 row_newbcast:15 row_mask:0xf bank_mask:0xf// 000000013020: 0A2626FA FF015F8F
	v_mul_f32_dpp v20, v143, v20 row_newbcast:0 row_mask:0xf bank_mask:0xf// 000000013028: 0A2828FA FF01508F
	v_mul_f32_dpp v21, v143, v21 row_newbcast:1 row_mask:0xf bank_mask:0xf// 000000013030: 0A2A2AFA FF01518F
	v_mul_f32_dpp v22, v143, v22 row_newbcast:2 row_mask:0xf bank_mask:0xf// 000000013038: 0A2C2CFA FF01528F
	v_mul_f32_dpp v23, v143, v23 row_newbcast:3 row_mask:0xf bank_mask:0xf// 000000013040: 0A2E2EFA FF01538F
	v_mul_f32_dpp v24, v143, v24 row_newbcast:4 row_mask:0xf bank_mask:0xf// 000000013048: 0A3030FA FF01548F
	v_mul_f32_dpp v25, v143, v25 row_newbcast:5 row_mask:0xf bank_mask:0xf// 000000013050: 0A3232FA FF01558F
	v_mul_f32_dpp v26, v143, v26 row_newbcast:6 row_mask:0xf bank_mask:0xf// 000000013058: 0A3434FA FF01568F
	v_mul_f32_dpp v27, v143, v27 row_newbcast:7 row_mask:0xf bank_mask:0xf// 000000013060: 0A3636FA FF01578F
	v_mul_f32_dpp v28, v143, v28 row_newbcast:8 row_mask:0xf bank_mask:0xf// 000000013068: 0A3838FA FF01588F
	v_mul_f32_dpp v29, v143, v29 row_newbcast:9 row_mask:0xf bank_mask:0xf// 000000013070: 0A3A3AFA FF01598F
	v_mul_f32_dpp v30, v143, v30 row_newbcast:10 row_mask:0xf bank_mask:0xf// 000000013078: 0A3C3CFA FF015A8F
	v_mul_f32_dpp v31, v143, v31 row_newbcast:11 row_mask:0xf bank_mask:0xf// 000000013080: 0A3E3EFA FF015B8F
	v_mul_f32_dpp v32, v143, v32 row_newbcast:12 row_mask:0xf bank_mask:0xf// 000000013088: 0A4040FA FF015C8F
	v_mul_f32_dpp v33, v143, v33 row_newbcast:13 row_mask:0xf bank_mask:0xf// 000000013090: 0A4242FA FF015D8F
	v_mul_f32_dpp v34, v143, v34 row_newbcast:14 row_mask:0xf bank_mask:0xf// 000000013098: 0A4444FA FF015E8F
	v_mul_f32_dpp v35, v143, v35 row_newbcast:15 row_mask:0xf bank_mask:0xf// 0000000130A0: 0A4646FA FF015F8F
	v_mul_f32_dpp v36, v143, v36 row_newbcast:0 row_mask:0xf bank_mask:0xf// 0000000130A8: 0A4848FA FF01508F
	v_mul_f32_dpp v37, v143, v37 row_newbcast:1 row_mask:0xf bank_mask:0xf// 0000000130B0: 0A4A4AFA FF01518F
	v_mul_f32_dpp v38, v143, v38 row_newbcast:2 row_mask:0xf bank_mask:0xf// 0000000130B8: 0A4C4CFA FF01528F
	v_mul_f32_dpp v39, v143, v39 row_newbcast:3 row_mask:0xf bank_mask:0xf// 0000000130C0: 0A4E4EFA FF01538F
	v_mul_f32_dpp v40, v143, v40 row_newbcast:4 row_mask:0xf bank_mask:0xf// 0000000130C8: 0A5050FA FF01548F
	v_mul_f32_dpp v41, v143, v41 row_newbcast:5 row_mask:0xf bank_mask:0xf// 0000000130D0: 0A5252FA FF01558F
	v_mul_f32_dpp v42, v143, v42 row_newbcast:6 row_mask:0xf bank_mask:0xf// 0000000130D8: 0A5454FA FF01568F
	v_mul_f32_dpp v43, v143, v43 row_newbcast:7 row_mask:0xf bank_mask:0xf// 0000000130E0: 0A5656FA FF01578F
	v_mul_f32_dpp v44, v143, v44 row_newbcast:8 row_mask:0xf bank_mask:0xf// 0000000130E8: 0A5858FA FF01588F
	v_mul_f32_dpp v45, v143, v45 row_newbcast:9 row_mask:0xf bank_mask:0xf// 0000000130F0: 0A5A5AFA FF01598F
	v_mul_f32_dpp v46, v143, v46 row_newbcast:10 row_mask:0xf bank_mask:0xf// 0000000130F8: 0A5C5CFA FF015A8F
	v_mul_f32_dpp v47, v143, v47 row_newbcast:11 row_mask:0xf bank_mask:0xf// 000000013100: 0A5E5EFA FF015B8F
	v_mul_f32_dpp v48, v143, v48 row_newbcast:12 row_mask:0xf bank_mask:0xf// 000000013108: 0A6060FA FF015C8F
	v_mul_f32_dpp v49, v143, v49 row_newbcast:13 row_mask:0xf bank_mask:0xf// 000000013110: 0A6262FA FF015D8F
	v_mul_f32_dpp v50, v143, v50 row_newbcast:14 row_mask:0xf bank_mask:0xf// 000000013118: 0A6464FA FF015E8F
	v_mul_f32_dpp v51, v143, v51 row_newbcast:15 row_mask:0xf bank_mask:0xf// 000000013120: 0A6666FA FF015F8F
	v_mul_f32_dpp v52, v143, v52 row_newbcast:0 row_mask:0xf bank_mask:0xf// 000000013128: 0A6868FA FF01508F
	v_mul_f32_dpp v53, v143, v53 row_newbcast:1 row_mask:0xf bank_mask:0xf// 000000013130: 0A6A6AFA FF01518F
	v_mul_f32_dpp v54, v143, v54 row_newbcast:2 row_mask:0xf bank_mask:0xf// 000000013138: 0A6C6CFA FF01528F
	v_mul_f32_dpp v55, v143, v55 row_newbcast:3 row_mask:0xf bank_mask:0xf// 000000013140: 0A6E6EFA FF01538F
	v_mul_f32_dpp v56, v143, v56 row_newbcast:4 row_mask:0xf bank_mask:0xf// 000000013148: 0A7070FA FF01548F
	v_mul_f32_dpp v57, v143, v57 row_newbcast:5 row_mask:0xf bank_mask:0xf// 000000013150: 0A7272FA FF01558F
	v_mul_f32_dpp v58, v143, v58 row_newbcast:6 row_mask:0xf bank_mask:0xf// 000000013158: 0A7474FA FF01568F
	v_mul_f32_dpp v59, v143, v59 row_newbcast:7 row_mask:0xf bank_mask:0xf// 000000013160: 0A7676FA FF01578F
	v_mul_f32_dpp v60, v143, v60 row_newbcast:8 row_mask:0xf bank_mask:0xf// 000000013168: 0A7878FA FF01588F
	v_mul_f32_dpp v61, v143, v61 row_newbcast:9 row_mask:0xf bank_mask:0xf// 000000013170: 0A7A7AFA FF01598F
	v_mul_f32_dpp v62, v143, v62 row_newbcast:10 row_mask:0xf bank_mask:0xf// 000000013178: 0A7C7CFA FF015A8F
	v_mul_f32_dpp v63, v143, v63 row_newbcast:11 row_mask:0xf bank_mask:0xf// 000000013180: 0A7E7EFA FF015B8F
	v_mul_f32_dpp v64, v143, v64 row_newbcast:12 row_mask:0xf bank_mask:0xf// 000000013188: 0A8080FA FF015C8F
	v_mul_f32_dpp v65, v143, v65 row_newbcast:13 row_mask:0xf bank_mask:0xf// 000000013190: 0A8282FA FF015D8F
	v_mul_f32_dpp v66, v143, v66 row_newbcast:14 row_mask:0xf bank_mask:0xf// 000000013198: 0A8484FA FF015E8F
	v_mul_f32_dpp v67, v143, v67 row_newbcast:15 row_mask:0xf bank_mask:0xf// 0000000131A0: 0A8686FA FF015F8F
	v_add_u32_e32 v196, s64, v215                              // 0000000131A8: 6989AE40
	v_add_u32_e32 v197, 0, v196                                // 0000000131AC: 698B8880
	v_cmp_lt_u32_e32 vcc, v197, v211                           // 0000000131B0: 7D93A7C5
	v_cndmask_b32_e32 v4, 0, v4, vcc                           // 0000000131B4: 00080880
	v_cmp_lt_u32_e32 vcc, v197, v212                           // 0000000131B8: 7D93A9C5
	v_cndmask_b32_e32 v20, 0, v20, vcc                         // 0000000131BC: 00282880
	v_cmp_lt_u32_e32 vcc, v197, v213                           // 0000000131C0: 7D93ABC5
	v_cndmask_b32_e32 v36, 0, v36, vcc                         // 0000000131C4: 00484880
	v_cmp_lt_u32_e32 vcc, v197, v214                           // 0000000131C8: 7D93ADC5
	v_cndmask_b32_e32 v52, 0, v52, vcc                         // 0000000131CC: 00686880
	v_add_u32_e32 v197, 1, v196                                // 0000000131D0: 698B8881
	v_cmp_lt_u32_e32 vcc, v197, v211                           // 0000000131D4: 7D93A7C5
	v_cndmask_b32_e32 v5, 0, v5, vcc                           // 0000000131D8: 000A0A80
	v_cmp_lt_u32_e32 vcc, v197, v212                           // 0000000131DC: 7D93A9C5
	v_cndmask_b32_e32 v21, 0, v21, vcc                         // 0000000131E0: 002A2A80
	v_cmp_lt_u32_e32 vcc, v197, v213                           // 0000000131E4: 7D93ABC5
	v_cndmask_b32_e32 v37, 0, v37, vcc                         // 0000000131E8: 004A4A80
	v_cmp_lt_u32_e32 vcc, v197, v214                           // 0000000131EC: 7D93ADC5
	v_cndmask_b32_e32 v53, 0, v53, vcc                         // 0000000131F0: 006A6A80
	v_add_u32_e32 v197, 2, v196                                // 0000000131F4: 698B8882
	v_cmp_lt_u32_e32 vcc, v197, v211                           // 0000000131F8: 7D93A7C5
	v_cndmask_b32_e32 v6, 0, v6, vcc                           // 0000000131FC: 000C0C80
	v_cmp_lt_u32_e32 vcc, v197, v212                           // 000000013200: 7D93A9C5
	v_cndmask_b32_e32 v22, 0, v22, vcc                         // 000000013204: 002C2C80
	v_cmp_lt_u32_e32 vcc, v197, v213                           // 000000013208: 7D93ABC5
	v_cndmask_b32_e32 v38, 0, v38, vcc                         // 00000001320C: 004C4C80
	v_cmp_lt_u32_e32 vcc, v197, v214                           // 000000013210: 7D93ADC5
	v_cndmask_b32_e32 v54, 0, v54, vcc                         // 000000013214: 006C6C80
	v_add_u32_e32 v197, 3, v196                                // 000000013218: 698B8883
	v_cmp_lt_u32_e32 vcc, v197, v211                           // 00000001321C: 7D93A7C5
	v_cndmask_b32_e32 v7, 0, v7, vcc                           // 000000013220: 000E0E80
	v_cmp_lt_u32_e32 vcc, v197, v212                           // 000000013224: 7D93A9C5
	v_cndmask_b32_e32 v23, 0, v23, vcc                         // 000000013228: 002E2E80
	v_cmp_lt_u32_e32 vcc, v197, v213                           // 00000001322C: 7D93ABC5
	v_cndmask_b32_e32 v39, 0, v39, vcc                         // 000000013230: 004E4E80
	v_cmp_lt_u32_e32 vcc, v197, v214                           // 000000013234: 7D93ADC5
	v_cndmask_b32_e32 v55, 0, v55, vcc                         // 000000013238: 006E6E80
	v_add_u32_e32 v197, 64, v196                               // 00000001323C: 698B88C0
	v_cmp_lt_u32_e32 vcc, v197, v211                           // 000000013240: 7D93A7C5
	v_cndmask_b32_e32 v8, 0, v8, vcc                           // 000000013244: 00101080
	v_cmp_lt_u32_e32 vcc, v197, v212                           // 000000013248: 7D93A9C5
	v_cndmask_b32_e32 v24, 0, v24, vcc                         // 00000001324C: 00303080
	v_cmp_lt_u32_e32 vcc, v197, v213                           // 000000013250: 7D93ABC5
	v_cndmask_b32_e32 v40, 0, v40, vcc                         // 000000013254: 00505080
	v_cmp_lt_u32_e32 vcc, v197, v214                           // 000000013258: 7D93ADC5
	v_cndmask_b32_e32 v56, 0, v56, vcc                         // 00000001325C: 00707080
	v_add_u32_e32 v197, 0x41, v196                             // 000000013260: 698B88FF 00000041
	v_cmp_lt_u32_e32 vcc, v197, v211                           // 000000013268: 7D93A7C5
	v_cndmask_b32_e32 v9, 0, v9, vcc                           // 00000001326C: 00121280
	v_cmp_lt_u32_e32 vcc, v197, v212                           // 000000013270: 7D93A9C5
	v_cndmask_b32_e32 v25, 0, v25, vcc                         // 000000013274: 00323280
	v_cmp_lt_u32_e32 vcc, v197, v213                           // 000000013278: 7D93ABC5
	v_cndmask_b32_e32 v41, 0, v41, vcc                         // 00000001327C: 00525280
	v_cmp_lt_u32_e32 vcc, v197, v214                           // 000000013280: 7D93ADC5
	v_cndmask_b32_e32 v57, 0, v57, vcc                         // 000000013284: 00727280
	v_add_u32_e32 v197, 0x42, v196                             // 000000013288: 698B88FF 00000042
	v_cmp_lt_u32_e32 vcc, v197, v211                           // 000000013290: 7D93A7C5
	v_cndmask_b32_e32 v10, 0, v10, vcc                         // 000000013294: 00141480
	v_cmp_lt_u32_e32 vcc, v197, v212                           // 000000013298: 7D93A9C5
	v_cndmask_b32_e32 v26, 0, v26, vcc                         // 00000001329C: 00343480
	v_cmp_lt_u32_e32 vcc, v197, v213                           // 0000000132A0: 7D93ABC5
	v_cndmask_b32_e32 v42, 0, v42, vcc                         // 0000000132A4: 00545480
	v_cmp_lt_u32_e32 vcc, v197, v214                           // 0000000132A8: 7D93ADC5
	v_cndmask_b32_e32 v58, 0, v58, vcc                         // 0000000132AC: 00747480
	v_add_u32_e32 v197, 0x43, v196                             // 0000000132B0: 698B88FF 00000043
	v_cmp_lt_u32_e32 vcc, v197, v211                           // 0000000132B8: 7D93A7C5
	v_cndmask_b32_e32 v11, 0, v11, vcc                         // 0000000132BC: 00161680
	v_cmp_lt_u32_e32 vcc, v197, v212                           // 0000000132C0: 7D93A9C5
	v_cndmask_b32_e32 v27, 0, v27, vcc                         // 0000000132C4: 00363680
	v_cmp_lt_u32_e32 vcc, v197, v213                           // 0000000132C8: 7D93ABC5
	v_cndmask_b32_e32 v43, 0, v43, vcc                         // 0000000132CC: 00565680
	v_cmp_lt_u32_e32 vcc, v197, v214                           // 0000000132D0: 7D93ADC5
	v_cndmask_b32_e32 v59, 0, v59, vcc                         // 0000000132D4: 00767680
	v_add_u32_e32 v197, 0x80, v196                             // 0000000132D8: 698B88FF 00000080
	v_cmp_lt_u32_e32 vcc, v197, v211                           // 0000000132E0: 7D93A7C5
	v_cndmask_b32_e32 v12, 0, v12, vcc                         // 0000000132E4: 00181880
	v_cmp_lt_u32_e32 vcc, v197, v212                           // 0000000132E8: 7D93A9C5
	v_cndmask_b32_e32 v28, 0, v28, vcc                         // 0000000132EC: 00383880
	v_cmp_lt_u32_e32 vcc, v197, v213                           // 0000000132F0: 7D93ABC5
	v_cndmask_b32_e32 v44, 0, v44, vcc                         // 0000000132F4: 00585880
	v_cmp_lt_u32_e32 vcc, v197, v214                           // 0000000132F8: 7D93ADC5
	v_cndmask_b32_e32 v60, 0, v60, vcc                         // 0000000132FC: 00787880
	v_add_u32_e32 v197, 0x81, v196                             // 000000013300: 698B88FF 00000081
	v_cmp_lt_u32_e32 vcc, v197, v211                           // 000000013308: 7D93A7C5
	v_cndmask_b32_e32 v13, 0, v13, vcc                         // 00000001330C: 001A1A80
	v_cmp_lt_u32_e32 vcc, v197, v212                           // 000000013310: 7D93A9C5
	v_cndmask_b32_e32 v29, 0, v29, vcc                         // 000000013314: 003A3A80
	v_cmp_lt_u32_e32 vcc, v197, v213                           // 000000013318: 7D93ABC5
	v_cndmask_b32_e32 v45, 0, v45, vcc                         // 00000001331C: 005A5A80
	v_cmp_lt_u32_e32 vcc, v197, v214                           // 000000013320: 7D93ADC5
	v_cndmask_b32_e32 v61, 0, v61, vcc                         // 000000013324: 007A7A80
	v_add_u32_e32 v197, 0x82, v196                             // 000000013328: 698B88FF 00000082
	v_cmp_lt_u32_e32 vcc, v197, v211                           // 000000013330: 7D93A7C5
	v_cndmask_b32_e32 v14, 0, v14, vcc                         // 000000013334: 001C1C80
	v_cmp_lt_u32_e32 vcc, v197, v212                           // 000000013338: 7D93A9C5
	v_cndmask_b32_e32 v30, 0, v30, vcc                         // 00000001333C: 003C3C80
	v_cmp_lt_u32_e32 vcc, v197, v213                           // 000000013340: 7D93ABC5
	v_cndmask_b32_e32 v46, 0, v46, vcc                         // 000000013344: 005C5C80
	v_cmp_lt_u32_e32 vcc, v197, v214                           // 000000013348: 7D93ADC5
	v_cndmask_b32_e32 v62, 0, v62, vcc                         // 00000001334C: 007C7C80
	v_add_u32_e32 v197, 0x83, v196                             // 000000013350: 698B88FF 00000083
	v_cmp_lt_u32_e32 vcc, v197, v211                           // 000000013358: 7D93A7C5
	v_cndmask_b32_e32 v15, 0, v15, vcc                         // 00000001335C: 001E1E80
	v_cmp_lt_u32_e32 vcc, v197, v212                           // 000000013360: 7D93A9C5
	v_cndmask_b32_e32 v31, 0, v31, vcc                         // 000000013364: 003E3E80
	v_cmp_lt_u32_e32 vcc, v197, v213                           // 000000013368: 7D93ABC5
	v_cndmask_b32_e32 v47, 0, v47, vcc                         // 00000001336C: 005E5E80
	v_cmp_lt_u32_e32 vcc, v197, v214                           // 000000013370: 7D93ADC5
	v_cndmask_b32_e32 v63, 0, v63, vcc                         // 000000013374: 007E7E80
	v_add_u32_e32 v197, 0xc0, v196                             // 000000013378: 698B88FF 000000C0
	v_cmp_lt_u32_e32 vcc, v197, v211                           // 000000013380: 7D93A7C5
	v_cndmask_b32_e32 v16, 0, v16, vcc                         // 000000013384: 00202080
	v_cmp_lt_u32_e32 vcc, v197, v212                           // 000000013388: 7D93A9C5
	v_cndmask_b32_e32 v32, 0, v32, vcc                         // 00000001338C: 00404080
	v_cmp_lt_u32_e32 vcc, v197, v213                           // 000000013390: 7D93ABC5
	v_cndmask_b32_e32 v48, 0, v48, vcc                         // 000000013394: 00606080
	v_cmp_lt_u32_e32 vcc, v197, v214                           // 000000013398: 7D93ADC5
	v_cndmask_b32_e32 v64, 0, v64, vcc                         // 00000001339C: 00808080
	v_add_u32_e32 v197, 0xc1, v196                             // 0000000133A0: 698B88FF 000000C1
	v_cmp_lt_u32_e32 vcc, v197, v211                           // 0000000133A8: 7D93A7C5
	v_cndmask_b32_e32 v17, 0, v17, vcc                         // 0000000133AC: 00222280
	v_cmp_lt_u32_e32 vcc, v197, v212                           // 0000000133B0: 7D93A9C5
	v_cndmask_b32_e32 v33, 0, v33, vcc                         // 0000000133B4: 00424280
	v_cmp_lt_u32_e32 vcc, v197, v213                           // 0000000133B8: 7D93ABC5
	v_cndmask_b32_e32 v49, 0, v49, vcc                         // 0000000133BC: 00626280
	v_cmp_lt_u32_e32 vcc, v197, v214                           // 0000000133C0: 7D93ADC5
	v_cndmask_b32_e32 v65, 0, v65, vcc                         // 0000000133C4: 00828280
	v_add_u32_e32 v197, 0xc2, v196                             // 0000000133C8: 698B88FF 000000C2
	v_cmp_lt_u32_e32 vcc, v197, v211                           // 0000000133D0: 7D93A7C5
	v_cndmask_b32_e32 v18, 0, v18, vcc                         // 0000000133D4: 00242480
	v_cmp_lt_u32_e32 vcc, v197, v212                           // 0000000133D8: 7D93A9C5
	v_cndmask_b32_e32 v34, 0, v34, vcc                         // 0000000133DC: 00444480
	v_cmp_lt_u32_e32 vcc, v197, v213                           // 0000000133E0: 7D93ABC5
	v_cndmask_b32_e32 v50, 0, v50, vcc                         // 0000000133E4: 00646480
	v_cmp_lt_u32_e32 vcc, v197, v214                           // 0000000133E8: 7D93ADC5
	v_cndmask_b32_e32 v66, 0, v66, vcc                         // 0000000133EC: 00848480
	v_add_u32_e32 v197, 0xc3, v196                             // 0000000133F0: 698B88FF 000000C3
	v_cmp_lt_u32_e32 vcc, v197, v211                           // 0000000133F8: 7D93A7C5
	v_cndmask_b32_e32 v19, 0, v19, vcc                         // 0000000133FC: 00262680
	v_cmp_lt_u32_e32 vcc, v197, v212                           // 000000013400: 7D93A9C5
	v_cndmask_b32_e32 v35, 0, v35, vcc                         // 000000013404: 00464680
	v_cmp_lt_u32_e32 vcc, v197, v213                           // 000000013408: 7D93ABC5
	v_cndmask_b32_e32 v51, 0, v51, vcc                         // 00000001340C: 00666680
	v_cmp_lt_u32_e32 vcc, v197, v214                           // 000000013410: 7D93ADC5
	v_cndmask_b32_e32 v67, 0, v67, vcc                         // 000000013414: 00868680
	v_mov_b32_e32 v176, 0x358637bd                             // 000000013418: 7F6002FF 358637BD
	v_max3_f32 v176, |v4|, |v5|, v176                          // 000000013420: D1D303B0 06C20B04
	v_max3_f32 v176, |v6|, |v7|, v176                          // 000000013428: D1D303B0 06C20F06
	v_max3_f32 v176, |v8|, |v9|, v176                          // 000000013430: D1D303B0 06C21308
	v_max3_f32 v176, |v10|, |v11|, v176                        // 000000013438: D1D303B0 06C2170A
	v_max3_f32 v176, |v12|, |v13|, v176                        // 000000013440: D1D303B0 06C21B0C
	v_max3_f32 v176, |v14|, |v15|, v176                        // 000000013448: D1D303B0 06C21F0E
	v_max3_f32 v176, |v16|, |v17|, v176                        // 000000013450: D1D303B0 06C22310
	v_max3_f32 v176, |v18|, |v19|, v176                        // 000000013458: D1D303B0 06C22712
	v_mov_b32_e32 v177, 0x358637bd                             // 000000013460: 7F6202FF 358637BD
	v_max3_f32 v177, |v20|, |v21|, v177                        // 000000013468: D1D303B1 06C62B14
	v_max3_f32 v177, |v22|, |v23|, v177                        // 000000013470: D1D303B1 06C62F16
	v_max3_f32 v177, |v24|, |v25|, v177                        // 000000013478: D1D303B1 06C63318
	v_max3_f32 v177, |v26|, |v27|, v177                        // 000000013480: D1D303B1 06C6371A
	v_max3_f32 v177, |v28|, |v29|, v177                        // 000000013488: D1D303B1 06C63B1C
	v_max3_f32 v177, |v30|, |v31|, v177                        // 000000013490: D1D303B1 06C63F1E
	v_max3_f32 v177, |v32|, |v33|, v177                        // 000000013498: D1D303B1 06C64320
	v_max3_f32 v177, |v34|, |v35|, v177                        // 0000000134A0: D1D303B1 06C64722
	v_mov_b32_e32 v178, 0x358637bd                             // 0000000134A8: 7F6402FF 358637BD
	v_max3_f32 v178, |v36|, |v37|, v178                        // 0000000134B0: D1D303B2 06CA4B24
	v_max3_f32 v178, |v38|, |v39|, v178                        // 0000000134B8: D1D303B2 06CA4F26
	v_max3_f32 v178, |v40|, |v41|, v178                        // 0000000134C0: D1D303B2 06CA5328
	v_max3_f32 v178, |v42|, |v43|, v178                        // 0000000134C8: D1D303B2 06CA572A
	v_max3_f32 v178, |v44|, |v45|, v178                        // 0000000134D0: D1D303B2 06CA5B2C
	v_max3_f32 v178, |v46|, |v47|, v178                        // 0000000134D8: D1D303B2 06CA5F2E
	v_max3_f32 v178, |v48|, |v49|, v178                        // 0000000134E0: D1D303B2 06CA6330
	v_max3_f32 v178, |v50|, |v51|, v178                        // 0000000134E8: D1D303B2 06CA6732
	v_mov_b32_e32 v179, 0x358637bd                             // 0000000134F0: 7F6602FF 358637BD
	v_max3_f32 v179, |v52|, |v53|, v179                        // 0000000134F8: D1D303B3 06CE6B34
	v_max3_f32 v179, |v54|, |v55|, v179                        // 000000013500: D1D303B3 06CE6F36
	v_max3_f32 v179, |v56|, |v57|, v179                        // 000000013508: D1D303B3 06CE7338
	v_max3_f32 v179, |v58|, |v59|, v179                        // 000000013510: D1D303B3 06CE773A
	v_max3_f32 v179, |v60|, |v61|, v179                        // 000000013518: D1D303B3 06CE7B3C
	v_max3_f32 v179, |v62|, |v63|, v179                        // 000000013520: D1D303B3 06CE7F3E
	v_max3_f32 v179, |v64|, |v65|, v179                        // 000000013528: D1D303B3 06CE8340
	v_max3_f32 v179, |v66|, |v67|, v179                        // 000000013530: D1D303B3 06CE8742
	ds_bpermute_b32 v180, v200, v176                           // 000000013538: D87E0000 B400B0C8
	ds_bpermute_b32 v181, v201, v176                           // 000000013540: D87E0000 B500B0C9
	ds_bpermute_b32 v182, v202, v176                           // 000000013548: D87E0000 B600B0CA
	ds_bpermute_b32 v183, v200, v177                           // 000000013550: D87E0000 B700B1C8
	ds_bpermute_b32 v184, v201, v177                           // 000000013558: D87E0000 B800B1C9
	ds_bpermute_b32 v185, v202, v177                           // 000000013560: D87E0000 B900B1CA
	ds_bpermute_b32 v186, v200, v178                           // 000000013568: D87E0000 BA00B2C8
	ds_bpermute_b32 v187, v201, v178                           // 000000013570: D87E0000 BB00B2C9
	ds_bpermute_b32 v188, v202, v178                           // 000000013578: D87E0000 BC00B2CA
	ds_bpermute_b32 v189, v200, v179                           // 000000013580: D87E0000 BD00B3C8
	ds_bpermute_b32 v190, v201, v179                           // 000000013588: D87E0000 BE00B3C9
	ds_bpermute_b32 v191, v202, v179                           // 000000013590: D87E0000 BF00B3CA
	s_waitcnt lgkmcnt(9)                                       // 000000013598: BF8CC97F
	v_max3_f32 v176, v180, v181, v176                          // 00000001359C: D1D300B0 06C36BB4
	v_max_f32_e32 v176, v182, v176                             // 0000000135A4: 176161B6
	s_waitcnt lgkmcnt(6)                                       // 0000000135A8: BF8CC67F
	v_max3_f32 v177, v183, v184, v177                          // 0000000135AC: D1D300B1 06C771B7
	v_max_f32_e32 v177, v185, v177                             // 0000000135B4: 176363B9
	s_waitcnt lgkmcnt(3)                                       // 0000000135B8: BF8CC37F
	v_max3_f32 v178, v186, v187, v178                          // 0000000135BC: D1D300B2 06CB77BA
	v_max_f32_e32 v178, v188, v178                             // 0000000135C4: 176565BC
	s_waitcnt lgkmcnt(0)                                       // 0000000135C8: BF8CC07F
	v_max3_f32 v179, v189, v190, v179                          // 0000000135CC: D1D300B3 06CF7DBD
	v_max_f32_e32 v179, v191, v179                             // 0000000135D4: 176767BF
	ds_write_b128 v247, v[176:179] offset:4096                 // 0000000135D8: D9BE1000 0000B0F7
	buffer_load_dword v140, v231, s[20:23], 0 offen            // 0000000135E0: E0501000 80058CE7
	s_waitcnt lgkmcnt(0)                                       // 0000000135E8: BF8CC07F
	s_barrier                                                  // 0000000135EC: BF8A0000
	buffer_load_dword v142, v232, s[24:27], 0 offen            // 0000000135F0: E0501000 80068EE8
	ds_read_b128 v[180:183], v248 offset:4096                  // 0000000135F8: D9FE1000 B40000F8
	ds_read_b128 v[184:187], v248 offset:4352                  // 000000013600: D9FE1100 B80000F8
	ds_read_b128 v[188:191], v248 offset:4608                  // 000000013608: D9FE1200 BC0000F8
	ds_read_b128 v[192:195], v248 offset:4864                  // 000000013610: D9FE1300 C00000F8
	s_waitcnt lgkmcnt(0)                                       // 000000013618: BF8CC07F
	v_max3_f32 v176, v180, v184, v176                          // 00000001361C: D1D300B0 06C371B4
	v_max3_f32 v177, v181, v185, v177                          // 000000013624: D1D300B1 06C773B5
	v_max3_f32 v178, v182, v186, v178                          // 00000001362C: D1D300B2 06CB75B6
	v_max3_f32 v179, v183, v187, v179                          // 000000013634: D1D300B3 06CF77B7
	v_max3_f32 v176, v188, v192, v176                          // 00000001363C: D1D300B0 06C381BC
	v_max3_f32 v177, v189, v193, v177                          // 000000013644: D1D300B1 06C783BD
	v_max3_f32 v178, v190, v194, v178                          // 00000001364C: D1D300B2 06CB85BE
	v_max3_f32 v179, v191, v195, v179                          // 000000013654: D1D300B3 06CF87BF
	v_rcp_f32_e32 v176, v176                                   // 00000001365C: 7F6045B0
	v_rcp_f32_e32 v177, v177                                   // 000000013660: 7F6245B1
	v_rcp_f32_e32 v178, v178                                   // 000000013664: 7F6445B2
	v_rcp_f32_e32 v179, v179                                   // 000000013668: 7F6645B3
	v_mul_f32_e32 v176, 0x43700000, v176                       // 00000001366C: 0B6160FF 43700000
	v_mul_f32_e32 v177, 0x43700000, v177                       // 000000013674: 0B6362FF 43700000
	v_mul_f32_e32 v178, 0x43700000, v178                       // 00000001367C: 0B6564FF 43700000
	v_mul_f32_e32 v179, 0x43700000, v179                       // 000000013684: 0B6766FF 43700000
	v_mul_f32_e32 v4, v176, v4                                 // 00000001368C: 0A0809B0
	v_mul_f32_e32 v5, v176, v5                                 // 000000013690: 0A0A0BB0
	v_mul_f32_e32 v6, v176, v6                                 // 000000013694: 0A0C0DB0
	v_mul_f32_e32 v7, v176, v7                                 // 000000013698: 0A0E0FB0
	v_mul_f32_e32 v8, v176, v8                                 // 00000001369C: 0A1011B0
	v_mul_f32_e32 v9, v176, v9                                 // 0000000136A0: 0A1213B0
	v_mul_f32_e32 v10, v176, v10                               // 0000000136A4: 0A1415B0
	v_mul_f32_e32 v11, v176, v11                               // 0000000136A8: 0A1617B0
	v_mul_f32_e32 v12, v176, v12                               // 0000000136AC: 0A1819B0
	v_mul_f32_e32 v13, v176, v13                               // 0000000136B0: 0A1A1BB0
	v_mul_f32_e32 v14, v176, v14                               // 0000000136B4: 0A1C1DB0
	v_mul_f32_e32 v15, v176, v15                               // 0000000136B8: 0A1E1FB0
	v_mul_f32_e32 v16, v176, v16                               // 0000000136BC: 0A2021B0
	v_mul_f32_e32 v17, v176, v17                               // 0000000136C0: 0A2223B0
	v_mul_f32_e32 v18, v176, v18                               // 0000000136C4: 0A2425B0
	v_mul_f32_e32 v19, v176, v19                               // 0000000136C8: 0A2627B0
	v_mul_f32_e32 v20, v177, v20                               // 0000000136CC: 0A2829B1
	v_mul_f32_e32 v21, v177, v21                               // 0000000136D0: 0A2A2BB1
	v_mul_f32_e32 v22, v177, v22                               // 0000000136D4: 0A2C2DB1
	v_mul_f32_e32 v23, v177, v23                               // 0000000136D8: 0A2E2FB1
	v_mul_f32_e32 v24, v177, v24                               // 0000000136DC: 0A3031B1
	v_mul_f32_e32 v25, v177, v25                               // 0000000136E0: 0A3233B1
	v_mul_f32_e32 v26, v177, v26                               // 0000000136E4: 0A3435B1
	v_mul_f32_e32 v27, v177, v27                               // 0000000136E8: 0A3637B1
	v_mul_f32_e32 v28, v177, v28                               // 0000000136EC: 0A3839B1
	v_mul_f32_e32 v29, v177, v29                               // 0000000136F0: 0A3A3BB1
	v_mul_f32_e32 v30, v177, v30                               // 0000000136F4: 0A3C3DB1
	v_mul_f32_e32 v31, v177, v31                               // 0000000136F8: 0A3E3FB1
	v_mul_f32_e32 v32, v177, v32                               // 0000000136FC: 0A4041B1
	v_mul_f32_e32 v33, v177, v33                               // 000000013700: 0A4243B1
	v_mul_f32_e32 v34, v177, v34                               // 000000013704: 0A4445B1
	v_mul_f32_e32 v35, v177, v35                               // 000000013708: 0A4647B1
	v_mul_f32_e32 v36, v178, v36                               // 00000001370C: 0A4849B2
	v_mul_f32_e32 v37, v178, v37                               // 000000013710: 0A4A4BB2
	v_mul_f32_e32 v38, v178, v38                               // 000000013714: 0A4C4DB2
	v_mul_f32_e32 v39, v178, v39                               // 000000013718: 0A4E4FB2
	v_mul_f32_e32 v40, v178, v40                               // 00000001371C: 0A5051B2
	v_mul_f32_e32 v41, v178, v41                               // 000000013720: 0A5253B2
	v_mul_f32_e32 v42, v178, v42                               // 000000013724: 0A5455B2
	v_mul_f32_e32 v43, v178, v43                               // 000000013728: 0A5657B2
	v_mul_f32_e32 v44, v178, v44                               // 00000001372C: 0A5859B2
	v_mul_f32_e32 v45, v178, v45                               // 000000013730: 0A5A5BB2
	v_mul_f32_e32 v46, v178, v46                               // 000000013734: 0A5C5DB2
	v_mul_f32_e32 v47, v178, v47                               // 000000013738: 0A5E5FB2
	v_mul_f32_e32 v48, v178, v48                               // 00000001373C: 0A6061B2
	v_mul_f32_e32 v49, v178, v49                               // 000000013740: 0A6263B2
	v_mul_f32_e32 v50, v178, v50                               // 000000013744: 0A6465B2
	v_mul_f32_e32 v51, v178, v51                               // 000000013748: 0A6667B2
	v_mul_f32_e32 v52, v179, v52                               // 00000001374C: 0A6869B3
	v_mul_f32_e32 v53, v179, v53                               // 000000013750: 0A6A6BB3
	v_mul_f32_e32 v54, v179, v54                               // 000000013754: 0A6C6DB3
	v_mul_f32_e32 v55, v179, v55                               // 000000013758: 0A6E6FB3
	v_mul_f32_e32 v56, v179, v56                               // 00000001375C: 0A7071B3
	v_mul_f32_e32 v57, v179, v57                               // 000000013760: 0A7273B3
	v_mul_f32_e32 v58, v179, v58                               // 000000013764: 0A7475B3
	v_mul_f32_e32 v59, v179, v59                               // 000000013768: 0A7677B3
	v_mul_f32_e32 v60, v179, v60                               // 00000001376C: 0A7879B3
	v_mul_f32_e32 v61, v179, v61                               // 000000013770: 0A7A7BB3
	v_mul_f32_e32 v62, v179, v62                               // 000000013774: 0A7C7DB3
	v_mul_f32_e32 v63, v179, v63                               // 000000013778: 0A7E7FB3
	v_mul_f32_e32 v64, v179, v64                               // 00000001377C: 0A8081B3
	v_mul_f32_e32 v65, v179, v65                               // 000000013780: 0A8283B3
	v_mul_f32_e32 v66, v179, v66                               // 000000013784: 0A8485B3
	v_mul_f32_e32 v67, v179, v67                               // 000000013788: 0A8687B3
	v_cvt_pk_fp8_f32 v4, v4, v5                                // 00000001378C: D2A20004 00020B04
	v_cvt_pk_fp8_f32 v4, v6, v7 op_sel:[0,0,1]                 // 000000013794: D2A24004 00020F06
	v_cvt_pk_fp8_f32 v5, v8, v9                                // 00000001379C: D2A20005 00021308
	v_cvt_pk_fp8_f32 v5, v10, v11 op_sel:[0,0,1]               // 0000000137A4: D2A24005 0002170A
	v_cvt_pk_fp8_f32 v6, v12, v13                              // 0000000137AC: D2A20006 00021B0C
	v_cvt_pk_fp8_f32 v6, v14, v15 op_sel:[0,0,1]               // 0000000137B4: D2A24006 00021F0E
	v_cvt_pk_fp8_f32 v7, v16, v17                              // 0000000137BC: D2A20007 00022310
	v_cvt_pk_fp8_f32 v7, v18, v19 op_sel:[0,0,1]               // 0000000137C4: D2A24007 00022712
	v_cvt_pk_fp8_f32 v8, v20, v21                              // 0000000137CC: D2A20008 00022B14
	v_cvt_pk_fp8_f32 v8, v22, v23 op_sel:[0,0,1]               // 0000000137D4: D2A24008 00022F16
	v_cvt_pk_fp8_f32 v9, v24, v25                              // 0000000137DC: D2A20009 00023318
	v_cvt_pk_fp8_f32 v9, v26, v27 op_sel:[0,0,1]               // 0000000137E4: D2A24009 0002371A
	v_cvt_pk_fp8_f32 v10, v28, v29                             // 0000000137EC: D2A2000A 00023B1C
	v_cvt_pk_fp8_f32 v10, v30, v31 op_sel:[0,0,1]              // 0000000137F4: D2A2400A 00023F1E
	v_cvt_pk_fp8_f32 v11, v32, v33                             // 0000000137FC: D2A2000B 00024320
	v_cvt_pk_fp8_f32 v11, v34, v35 op_sel:[0,0,1]              // 000000013804: D2A2400B 00024722
	v_cvt_pk_fp8_f32 v12, v36, v37                             // 00000001380C: D2A2000C 00024B24
	v_cvt_pk_fp8_f32 v12, v38, v39 op_sel:[0,0,1]              // 000000013814: D2A2400C 00024F26
	v_cvt_pk_fp8_f32 v13, v40, v41                             // 00000001381C: D2A2000D 00025328
	v_cvt_pk_fp8_f32 v13, v42, v43 op_sel:[0,0,1]              // 000000013824: D2A2400D 0002572A
	v_cvt_pk_fp8_f32 v14, v44, v45                             // 00000001382C: D2A2000E 00025B2C
	v_cvt_pk_fp8_f32 v14, v46, v47 op_sel:[0,0,1]              // 000000013834: D2A2400E 00025F2E
	v_cvt_pk_fp8_f32 v15, v48, v49                             // 00000001383C: D2A2000F 00026330
	v_cvt_pk_fp8_f32 v15, v50, v51 op_sel:[0,0,1]              // 000000013844: D2A2400F 00026732
	v_cvt_pk_fp8_f32 v16, v52, v53                             // 00000001384C: D2A20010 00026B34
	v_cvt_pk_fp8_f32 v16, v54, v55 op_sel:[0,0,1]              // 000000013854: D2A24010 00026F36
	v_cvt_pk_fp8_f32 v17, v56, v57                             // 00000001385C: D2A20011 00027338
	v_cvt_pk_fp8_f32 v17, v58, v59 op_sel:[0,0,1]              // 000000013864: D2A24011 0002773A
	v_cvt_pk_fp8_f32 v18, v60, v61                             // 00000001386C: D2A20012 00027B3C
	v_cvt_pk_fp8_f32 v18, v62, v63 op_sel:[0,0,1]              // 000000013874: D2A24012 00027F3E
	v_cvt_pk_fp8_f32 v19, v64, v65                             // 00000001387C: D2A20013 00028340
	v_cvt_pk_fp8_f32 v19, v66, v67 op_sel:[0,0,1]              // 000000013884: D2A24013 00028742
	ds_write_b32 v249, v4 offset:8192                          // 00000001388C: D81A2000 000004F9
	ds_write_b32 v249, v5 offset:9216                          // 000000013894: D81A2400 000005F9
	ds_write_b32 v249, v6 offset:10240                         // 00000001389C: D81A2800 000006F9
	ds_write_b32 v249, v7 offset:11264                         // 0000000138A4: D81A2C00 000007F9
	ds_write_b32 v249, v8 offset:12288                         // 0000000138AC: D81A3000 000008F9
	ds_write_b32 v249, v9 offset:13312                         // 0000000138B4: D81A3400 000009F9
	ds_write_b32 v249, v10 offset:14336                        // 0000000138BC: D81A3800 00000AF9
	ds_write_b32 v249, v11 offset:15360                        // 0000000138C4: D81A3C00 00000BF9
	ds_write_b32 v249, v12 offset:16384                        // 0000000138CC: D81A4000 00000CF9
	ds_write_b32 v249, v13 offset:17408                        // 0000000138D4: D81A4400 00000DF9
	ds_write_b32 v249, v14 offset:18432                        // 0000000138DC: D81A4800 00000EF9
	ds_write_b32 v249, v15 offset:19456                        // 0000000138E4: D81A4C00 00000FF9
	ds_write_b32 v249, v16 offset:20480                        // 0000000138EC: D81A5000 000010F9
	ds_write_b32 v249, v17 offset:21504                        // 0000000138F4: D81A5400 000011F9
	ds_write_b32 v249, v18 offset:22528                        // 0000000138FC: D81A5800 000012F9
	ds_write_b32 v249, v19 offset:23552                        // 000000013904: D81A5C00 000013F9
	v_rcp_f32_e32 v144, v176                                   // 00000001390C: 7F2045B0
	v_rcp_f32_e32 v146, v177                                   // 000000013910: 7F2445B1
	v_rcp_f32_e32 v148, v178                                   // 000000013914: 7F2845B2
	v_rcp_f32_e32 v150, v179                                   // 000000013918: 7F2C45B3
	v_mov_b32_e32 v145, v144                                   // 00000001391C: 7F220390
	v_mov_b32_e32 v147, v146                                   // 000000013920: 7F260392
	v_mov_b32_e32 v149, v148                                   // 000000013924: 7F2A0394
	v_mov_b32_e32 v151, v150                                   // 000000013928: 7F2E0396
	v_pk_add_f32 v[100:101], v[100:101], v[68:69]              // 00000001392C: D3B24064 18028964
	v_pk_add_f32 v[102:103], v[102:103], v[70:71]              // 000000013934: D3B24066 18028D66
	v_pk_add_f32 v[104:105], v[104:105], v[72:73]              // 00000001393C: D3B24068 18029168
	v_pk_add_f32 v[106:107], v[106:107], v[74:75]              // 000000013944: D3B2406A 1802956A
	v_pk_add_f32 v[108:109], v[108:109], v[76:77]              // 00000001394C: D3B2406C 1802996C
	v_pk_add_f32 v[110:111], v[110:111], v[78:79]              // 000000013954: D3B2406E 18029D6E
	v_pk_add_f32 v[112:113], v[112:113], v[80:81]              // 00000001395C: D3B24070 1802A170
	v_pk_add_f32 v[114:115], v[114:115], v[82:83]              // 000000013964: D3B24072 1802A572
	v_pk_add_f32 v[116:117], v[116:117], v[84:85]              // 00000001396C: D3B24074 1802A974
	v_pk_add_f32 v[118:119], v[118:119], v[86:87]              // 000000013974: D3B24076 1802AD76
	v_pk_add_f32 v[120:121], v[120:121], v[88:89]              // 00000001397C: D3B24078 1802B178
	v_pk_add_f32 v[122:123], v[122:123], v[90:91]              // 000000013984: D3B2407A 1802B57A
	v_pk_add_f32 v[124:125], v[124:125], v[92:93]              // 00000001398C: D3B2407C 1802B97C
	v_pk_add_f32 v[126:127], v[126:127], v[94:95]              // 000000013994: D3B2407E 1802BD7E
	v_pk_add_f32 v[128:129], v[128:129], v[96:97]              // 00000001399C: D3B24080 1802C180
	v_pk_add_f32 v[130:131], v[130:131], v[98:99]              // 0000000139A4: D3B24082 1802C582
	s_waitcnt lgkmcnt(0)                                       // 0000000139AC: BF8CC07F
	s_barrier                                                  // 0000000139B0: BF8A0000
	ds_read_b128 v[4:7], v250 offset:8192                      // 0000000139B4: D9FE2000 040000FA
	ds_read_b128 v[8:11], v250 offset:9216                     // 0000000139BC: D9FE2400 080000FA
	ds_read_b128 v[12:15], v250 offset:10240                   // 0000000139C4: D9FE2800 0C0000FA
	ds_read_b128 v[16:19], v250 offset:11264                   // 0000000139CC: D9FE2C00 100000FA
	ds_read_b128 v[20:23], v250 offset:12288                   // 0000000139D4: D9FE3000 140000FA
	ds_read_b128 v[24:27], v250 offset:13312                   // 0000000139DC: D9FE3400 180000FA
	ds_read_b128 v[28:31], v250 offset:14336                   // 0000000139E4: D9FE3800 1C0000FA
	ds_read_b128 v[32:35], v250 offset:15360                   // 0000000139EC: D9FE3C00 200000FA
	ds_read_b128 v[36:39], v250 offset:16384                   // 0000000139F4: D9FE4000 240000FA
	ds_read_b128 v[40:43], v250 offset:17408                   // 0000000139FC: D9FE4400 280000FA
	ds_read_b128 v[44:47], v250 offset:18432                   // 000000013A04: D9FE4800 2C0000FA
	ds_read_b128 v[48:51], v250 offset:19456                   // 000000013A0C: D9FE4C00 300000FA
	ds_read_b128 v[52:55], v250 offset:20480                   // 000000013A14: D9FE5000 340000FA
	ds_read_b128 v[56:59], v250 offset:21504                   // 000000013A1C: D9FE5400 380000FA
	ds_read_b128 v[60:63], v250 offset:22528                   // 000000013A24: D9FE5800 3C0000FA
	ds_read_b128 v[64:67], v250 offset:23552                   // 000000013A2C: D9FE5C00 400000FA
	s_waitcnt vmcnt(10)                                        // 000000013A34: BF8C0F7A
	v_lshrrev_b32_e32 v203, 4, v0                              // 000000013A38: 21960084
	v_lshlrev_b32_e32 v203, 4, v203                            // 000000013A3C: 25979684
	v_add_u32_e32 v196, s64, v203                              // 000000013A40: 69899640
	v_add_u32_e32 v196, 4, v196                                // 000000013A44: 69898884
	v_sub_i32 v196, v196, s62                                  // 000000013A48: D29D00C4 00007DC4
	s_mov_b32 s54, 0                                           // 000000013A50: BEB60080
	v_add_i32 v197, s54, v196                                  // 000000013A54: D29C00C5 00038836
	v_cmp_lt_i32_e64 vcc, v197, 4                              // 000000013A5C: D0C1006A 000109C5
	v_min_u32_e32 v197, 4, v197                                // 000000013A64: 1D8B8A84
	v_lshlrev_b32_e32 v197, 3, v197                            // 000000013A68: 258B8A83
	v_lshrrev_b32_e64 v198, v197, -1                           // 000000013A6C: D11000C6 000183C5
	v_accvgpr_read_b32 v199, a128                              // 000000013A74: D3D840C7 18000180
	v_cndmask_b32_e32 v199, 0, v199, vcc                       // 000000013A7C: 018F8E80
	v_and_b32_e32 v199, v199, v198                             // 000000013A80: 278F8DC7
	v_accvgpr_write_b32 a128, v199                             // 000000013A84: D3D94080 180001C7
	v_accvgpr_read_b32 v199, a144                              // 000000013A8C: D3D840C7 18000190
	v_cndmask_b32_e32 v199, 0, v199, vcc                       // 000000013A94: 018F8E80
	v_and_b32_e32 v199, v199, v198                             // 000000013A98: 278F8DC7
	v_accvgpr_write_b32 a144, v199                             // 000000013A9C: D3D94090 180001C7
	s_mov_b32 s54, 4                                           // 000000013AA4: BEB60084
	v_add_i32 v197, s54, v196                                  // 000000013AA8: D29C00C5 00038836
	v_cmp_lt_i32_e64 vcc, v197, 4                              // 000000013AB0: D0C1006A 000109C5
	v_min_u32_e32 v197, 4, v197                                // 000000013AB8: 1D8B8A84
	v_lshlrev_b32_e32 v197, 3, v197                            // 000000013ABC: 258B8A83
	v_lshrrev_b32_e64 v198, v197, -1                           // 000000013AC0: D11000C6 000183C5
	v_accvgpr_read_b32 v199, a129                              // 000000013AC8: D3D840C7 18000181
	v_cndmask_b32_e32 v199, 0, v199, vcc                       // 000000013AD0: 018F8E80
	v_and_b32_e32 v199, v199, v198                             // 000000013AD4: 278F8DC7
	v_accvgpr_write_b32 a129, v199                             // 000000013AD8: D3D94081 180001C7
	v_accvgpr_read_b32 v199, a145                              // 000000013AE0: D3D840C7 18000191
	v_cndmask_b32_e32 v199, 0, v199, vcc                       // 000000013AE8: 018F8E80
	v_and_b32_e32 v199, v199, v198                             // 000000013AEC: 278F8DC7
	v_accvgpr_write_b32 a145, v199                             // 000000013AF0: D3D94091 180001C7
	s_mov_b32 s54, 8                                           // 000000013AF8: BEB60088
	v_add_i32 v197, s54, v196                                  // 000000013AFC: D29C00C5 00038836
	v_cmp_lt_i32_e64 vcc, v197, 4                              // 000000013B04: D0C1006A 000109C5
	v_min_u32_e32 v197, 4, v197                                // 000000013B0C: 1D8B8A84
	v_lshlrev_b32_e32 v197, 3, v197                            // 000000013B10: 258B8A83
	v_lshrrev_b32_e64 v198, v197, -1                           // 000000013B14: D11000C6 000183C5
	v_accvgpr_read_b32 v199, a130                              // 000000013B1C: D3D840C7 18000182
	v_cndmask_b32_e32 v199, 0, v199, vcc                       // 000000013B24: 018F8E80
	v_and_b32_e32 v199, v199, v198                             // 000000013B28: 278F8DC7
	v_accvgpr_write_b32 a130, v199                             // 000000013B2C: D3D94082 180001C7
	v_accvgpr_read_b32 v199, a146                              // 000000013B34: D3D840C7 18000192
	v_cndmask_b32_e32 v199, 0, v199, vcc                       // 000000013B3C: 018F8E80
	v_and_b32_e32 v199, v199, v198                             // 000000013B40: 278F8DC7
	v_accvgpr_write_b32 a146, v199                             // 000000013B44: D3D94092 180001C7
	s_mov_b32 s54, 12                                          // 000000013B4C: BEB6008C
	v_add_i32 v197, s54, v196                                  // 000000013B50: D29C00C5 00038836
	v_cmp_lt_i32_e64 vcc, v197, 4                              // 000000013B58: D0C1006A 000109C5
	v_min_u32_e32 v197, 4, v197                                // 000000013B60: 1D8B8A84
	v_lshlrev_b32_e32 v197, 3, v197                            // 000000013B64: 258B8A83
	v_lshrrev_b32_e64 v198, v197, -1                           // 000000013B68: D11000C6 000183C5
	v_accvgpr_read_b32 v199, a131                              // 000000013B70: D3D840C7 18000183
	v_cndmask_b32_e32 v199, 0, v199, vcc                       // 000000013B78: 018F8E80
	v_and_b32_e32 v199, v199, v198                             // 000000013B7C: 278F8DC7
	v_accvgpr_write_b32 a131, v199                             // 000000013B80: D3D94083 180001C7
	v_accvgpr_read_b32 v199, a147                              // 000000013B88: D3D840C7 18000193
	v_cndmask_b32_e32 v199, 0, v199, vcc                       // 000000013B90: 018F8E80
	v_and_b32_e32 v199, v199, v198                             // 000000013B94: 278F8DC7
	v_accvgpr_write_b32 a147, v199                             // 000000013B98: D3D94093 180001C7
	s_mov_b32 s54, 64                                          // 000000013BA0: BEB600C0
	v_add_i32 v197, s54, v196                                  // 000000013BA4: D29C00C5 00038836
	v_cmp_lt_i32_e64 vcc, v197, 4                              // 000000013BAC: D0C1006A 000109C5
	v_min_u32_e32 v197, 4, v197                                // 000000013BB4: 1D8B8A84
	v_lshlrev_b32_e32 v197, 3, v197                            // 000000013BB8: 258B8A83
	v_lshrrev_b32_e64 v198, v197, -1                           // 000000013BBC: D11000C6 000183C5
	v_accvgpr_read_b32 v199, a132                              // 000000013BC4: D3D840C7 18000184
	v_cndmask_b32_e32 v199, 0, v199, vcc                       // 000000013BCC: 018F8E80
	v_and_b32_e32 v199, v199, v198                             // 000000013BD0: 278F8DC7
	v_accvgpr_write_b32 a132, v199                             // 000000013BD4: D3D94084 180001C7
	v_accvgpr_read_b32 v199, a148                              // 000000013BDC: D3D840C7 18000194
	v_cndmask_b32_e32 v199, 0, v199, vcc                       // 000000013BE4: 018F8E80
	v_and_b32_e32 v199, v199, v198                             // 000000013BE8: 278F8DC7
	v_accvgpr_write_b32 a148, v199                             // 000000013BEC: D3D94094 180001C7
	s_mov_b32 s54, 0x44                                        // 000000013BF4: BEB600FF 00000044
	v_add_i32 v197, s54, v196                                  // 000000013BFC: D29C00C5 00038836
	v_cmp_lt_i32_e64 vcc, v197, 4                              // 000000013C04: D0C1006A 000109C5
	v_min_u32_e32 v197, 4, v197                                // 000000013C0C: 1D8B8A84
	v_lshlrev_b32_e32 v197, 3, v197                            // 000000013C10: 258B8A83
	v_lshrrev_b32_e64 v198, v197, -1                           // 000000013C14: D11000C6 000183C5
	v_accvgpr_read_b32 v199, a133                              // 000000013C1C: D3D840C7 18000185
	v_cndmask_b32_e32 v199, 0, v199, vcc                       // 000000013C24: 018F8E80
	v_and_b32_e32 v199, v199, v198                             // 000000013C28: 278F8DC7
	v_accvgpr_write_b32 a133, v199                             // 000000013C2C: D3D94085 180001C7
	v_accvgpr_read_b32 v199, a149                              // 000000013C34: D3D840C7 18000195
	v_cndmask_b32_e32 v199, 0, v199, vcc                       // 000000013C3C: 018F8E80
	v_and_b32_e32 v199, v199, v198                             // 000000013C40: 278F8DC7
	v_accvgpr_write_b32 a149, v199                             // 000000013C44: D3D94095 180001C7
	s_mov_b32 s54, 0x48                                        // 000000013C4C: BEB600FF 00000048
	v_add_i32 v197, s54, v196                                  // 000000013C54: D29C00C5 00038836
	v_cmp_lt_i32_e64 vcc, v197, 4                              // 000000013C5C: D0C1006A 000109C5
	v_min_u32_e32 v197, 4, v197                                // 000000013C64: 1D8B8A84
	v_lshlrev_b32_e32 v197, 3, v197                            // 000000013C68: 258B8A83
	v_lshrrev_b32_e64 v198, v197, -1                           // 000000013C6C: D11000C6 000183C5
	v_accvgpr_read_b32 v199, a134                              // 000000013C74: D3D840C7 18000186
	v_cndmask_b32_e32 v199, 0, v199, vcc                       // 000000013C7C: 018F8E80
	v_and_b32_e32 v199, v199, v198                             // 000000013C80: 278F8DC7
	v_accvgpr_write_b32 a134, v199                             // 000000013C84: D3D94086 180001C7
	v_accvgpr_read_b32 v199, a150                              // 000000013C8C: D3D840C7 18000196
	v_cndmask_b32_e32 v199, 0, v199, vcc                       // 000000013C94: 018F8E80
	v_and_b32_e32 v199, v199, v198                             // 000000013C98: 278F8DC7
	v_accvgpr_write_b32 a150, v199                             // 000000013C9C: D3D94096 180001C7
	s_mov_b32 s54, 0x4c                                        // 000000013CA4: BEB600FF 0000004C
	v_add_i32 v197, s54, v196                                  // 000000013CAC: D29C00C5 00038836
	v_cmp_lt_i32_e64 vcc, v197, 4                              // 000000013CB4: D0C1006A 000109C5
	v_min_u32_e32 v197, 4, v197                                // 000000013CBC: 1D8B8A84
	v_lshlrev_b32_e32 v197, 3, v197                            // 000000013CC0: 258B8A83
	v_lshrrev_b32_e64 v198, v197, -1                           // 000000013CC4: D11000C6 000183C5
	v_accvgpr_read_b32 v199, a135                              // 000000013CCC: D3D840C7 18000187
	v_cndmask_b32_e32 v199, 0, v199, vcc                       // 000000013CD4: 018F8E80
	v_and_b32_e32 v199, v199, v198                             // 000000013CD8: 278F8DC7
	v_accvgpr_write_b32 a135, v199                             // 000000013CDC: D3D94087 180001C7
	v_accvgpr_read_b32 v199, a151                              // 000000013CE4: D3D840C7 18000197
	v_cndmask_b32_e32 v199, 0, v199, vcc                       // 000000013CEC: 018F8E80
	v_and_b32_e32 v199, v199, v198                             // 000000013CF0: 278F8DC7
	v_accvgpr_write_b32 a151, v199                             // 000000013CF4: D3D94097 180001C7
	s_mov_b32 s54, 0x80                                        // 000000013CFC: BEB600FF 00000080
	v_add_i32 v197, s54, v196                                  // 000000013D04: D29C00C5 00038836
	v_cmp_lt_i32_e64 vcc, v197, 4                              // 000000013D0C: D0C1006A 000109C5
	v_min_u32_e32 v197, 4, v197                                // 000000013D14: 1D8B8A84
	v_lshlrev_b32_e32 v197, 3, v197                            // 000000013D18: 258B8A83
	v_lshrrev_b32_e64 v198, v197, -1                           // 000000013D1C: D11000C6 000183C5
	v_accvgpr_read_b32 v199, a136                              // 000000013D24: D3D840C7 18000188
	v_cndmask_b32_e32 v199, 0, v199, vcc                       // 000000013D2C: 018F8E80
	v_and_b32_e32 v199, v199, v198                             // 000000013D30: 278F8DC7
	v_accvgpr_write_b32 a136, v199                             // 000000013D34: D3D94088 180001C7
	v_accvgpr_read_b32 v199, a152                              // 000000013D3C: D3D840C7 18000198
	v_cndmask_b32_e32 v199, 0, v199, vcc                       // 000000013D44: 018F8E80
	v_and_b32_e32 v199, v199, v198                             // 000000013D48: 278F8DC7
	v_accvgpr_write_b32 a152, v199                             // 000000013D4C: D3D94098 180001C7
	s_mov_b32 s54, 0x84                                        // 000000013D54: BEB600FF 00000084
	v_add_i32 v197, s54, v196                                  // 000000013D5C: D29C00C5 00038836
	v_cmp_lt_i32_e64 vcc, v197, 4                              // 000000013D64: D0C1006A 000109C5
	v_min_u32_e32 v197, 4, v197                                // 000000013D6C: 1D8B8A84
	v_lshlrev_b32_e32 v197, 3, v197                            // 000000013D70: 258B8A83
	v_lshrrev_b32_e64 v198, v197, -1                           // 000000013D74: D11000C6 000183C5
	v_accvgpr_read_b32 v199, a137                              // 000000013D7C: D3D840C7 18000189
	v_cndmask_b32_e32 v199, 0, v199, vcc                       // 000000013D84: 018F8E80
	v_and_b32_e32 v199, v199, v198                             // 000000013D88: 278F8DC7
	v_accvgpr_write_b32 a137, v199                             // 000000013D8C: D3D94089 180001C7
	v_accvgpr_read_b32 v199, a153                              // 000000013D94: D3D840C7 18000199
	v_cndmask_b32_e32 v199, 0, v199, vcc                       // 000000013D9C: 018F8E80
	v_and_b32_e32 v199, v199, v198                             // 000000013DA0: 278F8DC7
	v_accvgpr_write_b32 a153, v199                             // 000000013DA4: D3D94099 180001C7
	s_mov_b32 s54, 0x88                                        // 000000013DAC: BEB600FF 00000088
	v_add_i32 v197, s54, v196                                  // 000000013DB4: D29C00C5 00038836
	v_cmp_lt_i32_e64 vcc, v197, 4                              // 000000013DBC: D0C1006A 000109C5
	v_min_u32_e32 v197, 4, v197                                // 000000013DC4: 1D8B8A84
	v_lshlrev_b32_e32 v197, 3, v197                            // 000000013DC8: 258B8A83
	v_lshrrev_b32_e64 v198, v197, -1                           // 000000013DCC: D11000C6 000183C5
	v_accvgpr_read_b32 v199, a138                              // 000000013DD4: D3D840C7 1800018A
	v_cndmask_b32_e32 v199, 0, v199, vcc                       // 000000013DDC: 018F8E80
	v_and_b32_e32 v199, v199, v198                             // 000000013DE0: 278F8DC7
	v_accvgpr_write_b32 a138, v199                             // 000000013DE4: D3D9408A 180001C7
	v_accvgpr_read_b32 v199, a154                              // 000000013DEC: D3D840C7 1800019A
	v_cndmask_b32_e32 v199, 0, v199, vcc                       // 000000013DF4: 018F8E80
	v_and_b32_e32 v199, v199, v198                             // 000000013DF8: 278F8DC7
	v_accvgpr_write_b32 a154, v199                             // 000000013DFC: D3D9409A 180001C7
	s_mov_b32 s54, 0x8c                                        // 000000013E04: BEB600FF 0000008C
	v_add_i32 v197, s54, v196                                  // 000000013E0C: D29C00C5 00038836
	v_cmp_lt_i32_e64 vcc, v197, 4                              // 000000013E14: D0C1006A 000109C5
	v_min_u32_e32 v197, 4, v197                                // 000000013E1C: 1D8B8A84
	v_lshlrev_b32_e32 v197, 3, v197                            // 000000013E20: 258B8A83
	v_lshrrev_b32_e64 v198, v197, -1                           // 000000013E24: D11000C6 000183C5
	v_accvgpr_read_b32 v199, a139                              // 000000013E2C: D3D840C7 1800018B
	v_cndmask_b32_e32 v199, 0, v199, vcc                       // 000000013E34: 018F8E80
	v_and_b32_e32 v199, v199, v198                             // 000000013E38: 278F8DC7
	v_accvgpr_write_b32 a139, v199                             // 000000013E3C: D3D9408B 180001C7
	v_accvgpr_read_b32 v199, a155                              // 000000013E44: D3D840C7 1800019B
	v_cndmask_b32_e32 v199, 0, v199, vcc                       // 000000013E4C: 018F8E80
	v_and_b32_e32 v199, v199, v198                             // 000000013E50: 278F8DC7
	v_accvgpr_write_b32 a155, v199                             // 000000013E54: D3D9409B 180001C7
	s_mov_b32 s54, 0xc0                                        // 000000013E5C: BEB600FF 000000C0
	v_add_i32 v197, s54, v196                                  // 000000013E64: D29C00C5 00038836
	v_cmp_lt_i32_e64 vcc, v197, 4                              // 000000013E6C: D0C1006A 000109C5
	v_min_u32_e32 v197, 4, v197                                // 000000013E74: 1D8B8A84
	v_lshlrev_b32_e32 v197, 3, v197                            // 000000013E78: 258B8A83
	v_lshrrev_b32_e64 v198, v197, -1                           // 000000013E7C: D11000C6 000183C5
	v_accvgpr_read_b32 v199, a140                              // 000000013E84: D3D840C7 1800018C
	v_cndmask_b32_e32 v199, 0, v199, vcc                       // 000000013E8C: 018F8E80
	v_and_b32_e32 v199, v199, v198                             // 000000013E90: 278F8DC7
	v_accvgpr_write_b32 a140, v199                             // 000000013E94: D3D9408C 180001C7
	v_accvgpr_read_b32 v199, a156                              // 000000013E9C: D3D840C7 1800019C
	v_cndmask_b32_e32 v199, 0, v199, vcc                       // 000000013EA4: 018F8E80
	v_and_b32_e32 v199, v199, v198                             // 000000013EA8: 278F8DC7
	v_accvgpr_write_b32 a156, v199                             // 000000013EAC: D3D9409C 180001C7
	s_mov_b32 s54, 0xc4                                        // 000000013EB4: BEB600FF 000000C4
	v_add_i32 v197, s54, v196                                  // 000000013EBC: D29C00C5 00038836
	v_cmp_lt_i32_e64 vcc, v197, 4                              // 000000013EC4: D0C1006A 000109C5
	v_min_u32_e32 v197, 4, v197                                // 000000013ECC: 1D8B8A84
	v_lshlrev_b32_e32 v197, 3, v197                            // 000000013ED0: 258B8A83
	v_lshrrev_b32_e64 v198, v197, -1                           // 000000013ED4: D11000C6 000183C5
	v_accvgpr_read_b32 v199, a141                              // 000000013EDC: D3D840C7 1800018D
	v_cndmask_b32_e32 v199, 0, v199, vcc                       // 000000013EE4: 018F8E80
	v_and_b32_e32 v199, v199, v198                             // 000000013EE8: 278F8DC7
	v_accvgpr_write_b32 a141, v199                             // 000000013EEC: D3D9408D 180001C7
	v_accvgpr_read_b32 v199, a157                              // 000000013EF4: D3D840C7 1800019D
	v_cndmask_b32_e32 v199, 0, v199, vcc                       // 000000013EFC: 018F8E80
	v_and_b32_e32 v199, v199, v198                             // 000000013F00: 278F8DC7
	v_accvgpr_write_b32 a157, v199                             // 000000013F04: D3D9409D 180001C7
	s_mov_b32 s54, 0xc8                                        // 000000013F0C: BEB600FF 000000C8
	v_add_i32 v197, s54, v196                                  // 000000013F14: D29C00C5 00038836
	v_cmp_lt_i32_e64 vcc, v197, 4                              // 000000013F1C: D0C1006A 000109C5
	v_min_u32_e32 v197, 4, v197                                // 000000013F24: 1D8B8A84
	v_lshlrev_b32_e32 v197, 3, v197                            // 000000013F28: 258B8A83
	v_lshrrev_b32_e64 v198, v197, -1                           // 000000013F2C: D11000C6 000183C5
	v_accvgpr_read_b32 v199, a142                              // 000000013F34: D3D840C7 1800018E
	v_cndmask_b32_e32 v199, 0, v199, vcc                       // 000000013F3C: 018F8E80
	v_and_b32_e32 v199, v199, v198                             // 000000013F40: 278F8DC7
	v_accvgpr_write_b32 a142, v199                             // 000000013F44: D3D9408E 180001C7
	v_accvgpr_read_b32 v199, a158                              // 000000013F4C: D3D840C7 1800019E
	v_cndmask_b32_e32 v199, 0, v199, vcc                       // 000000013F54: 018F8E80
	v_and_b32_e32 v199, v199, v198                             // 000000013F58: 278F8DC7
	v_accvgpr_write_b32 a158, v199                             // 000000013F5C: D3D9409E 180001C7
	s_mov_b32 s54, 0xcc                                        // 000000013F64: BEB600FF 000000CC
	v_add_i32 v197, s54, v196                                  // 000000013F6C: D29C00C5 00038836
	v_cmp_lt_i32_e64 vcc, v197, 4                              // 000000013F74: D0C1006A 000109C5
	v_min_u32_e32 v197, 4, v197                                // 000000013F7C: 1D8B8A84
	v_lshlrev_b32_e32 v197, 3, v197                            // 000000013F80: 258B8A83
	v_lshrrev_b32_e64 v198, v197, -1                           // 000000013F84: D11000C6 000183C5
	v_accvgpr_read_b32 v199, a143                              // 000000013F8C: D3D840C7 1800018F
	v_cndmask_b32_e32 v199, 0, v199, vcc                       // 000000013F94: 018F8E80
	v_and_b32_e32 v199, v199, v198                             // 000000013F98: 278F8DC7
	v_accvgpr_write_b32 a143, v199                             // 000000013F9C: D3D9408F 180001C7
	v_accvgpr_read_b32 v199, a159                              // 000000013FA4: D3D840C7 1800019F
	v_cndmask_b32_e32 v199, 0, v199, vcc                       // 000000013FAC: 018F8E80
	v_and_b32_e32 v199, v199, v198                             // 000000013FB0: 278F8DC7
	v_accvgpr_write_b32 a159, v199                             // 000000013FB4: D3D9409F 180001C7
	s_waitcnt vmcnt(63) expcnt(7) lgkmcnt(15)                  // 000000013FBC: BF8CCF7F
	v_mfma_f32_16x16x32_fp8_fp8 v[68:71], a[128:129], v[4:5], 0// 000000013FC0: D3F30044 0A020980
	v_mfma_f32_16x16x32_fp8_fp8 v[72:75], a[144:145], v[4:5], 0// 000000013FC8: D3F30048 0A020990
	v_mfma_f32_16x16x32_fp8_fp8 v[68:71], a[130:131], v[6:7], v[68:71]// 000000013FD0: D3F30044 0D120D82
	buffer_load_dwordx4 a[96:99], v227, s[16:19], 0 offen      // 000000013FD8: E05C1000 808460E3
	v_mfma_f32_16x16x32_fp8_fp8 v[72:75], a[146:147], v[6:7], v[72:75]// 000000013FE0: D3F30048 0D220D92
	s_waitcnt lgkmcnt(14)                                      // 000000013FE8: BF8CCE7F
	v_mfma_f32_16x16x32_fp8_fp8 v[68:71], a[132:133], v[8:9], v[68:71]// 000000013FEC: D3F30044 0D121184
	v_mfma_f32_16x16x32_fp8_fp8 v[72:75], a[148:149], v[8:9], v[72:75]// 000000013FF4: D3F30048 0D221194
	v_mfma_f32_16x16x32_fp8_fp8 v[68:71], a[134:135], v[10:11], v[68:71]// 000000013FFC: D3F30044 0D121586
	buffer_load_dwordx4 a[100:103], v228, s[16:19], 0 offen    // 000000014004: E05C1000 808464E4
	v_mfma_f32_16x16x32_fp8_fp8 v[72:75], a[150:151], v[10:11], v[72:75]// 00000001400C: D3F30048 0D221596
	s_waitcnt lgkmcnt(13)                                      // 000000014014: BF8CCD7F
	v_mfma_f32_16x16x32_fp8_fp8 v[68:71], a[136:137], v[12:13], v[68:71]// 000000014018: D3F30044 0D121988
	v_mfma_f32_16x16x32_fp8_fp8 v[72:75], a[152:153], v[12:13], v[72:75]// 000000014020: D3F30048 0D221998
	v_mfma_f32_16x16x32_fp8_fp8 v[68:71], a[138:139], v[14:15], v[68:71]// 000000014028: D3F30044 0D121D8A
	buffer_load_dwordx4 a[104:107], v229, s[16:19], 0 offen    // 000000014030: E05C1000 808468E5
	v_mfma_f32_16x16x32_fp8_fp8 v[72:75], a[154:155], v[14:15], v[72:75]// 000000014038: D3F30048 0D221D9A
	s_waitcnt lgkmcnt(12)                                      // 000000014040: BF8CCC7F
	v_mfma_f32_16x16x32_fp8_fp8 v[68:71], a[140:141], v[16:17], v[68:71]// 000000014044: D3F30044 0D12218C
	v_mfma_f32_16x16x32_fp8_fp8 v[72:75], a[156:157], v[16:17], v[72:75]// 00000001404C: D3F30048 0D22219C
	v_mfma_f32_16x16x32_fp8_fp8 v[68:71], a[142:143], v[18:19], v[68:71]// 000000014054: D3F30044 0D12258E
	buffer_load_dwordx4 a[108:111], v230, s[16:19], 0 offen    // 00000001405C: E05C1000 80846CE6
	v_mfma_f32_16x16x32_fp8_fp8 v[72:75], a[158:159], v[18:19], v[72:75]// 000000014064: D3F30048 0D22259E
	s_waitcnt lgkmcnt(11)                                      // 00000001406C: BF8CCB7F
	v_mfma_f32_16x16x32_fp8_fp8 v[76:79], a[128:129], v[20:21], 0// 000000014070: D3F3004C 0A022980
	v_mfma_f32_16x16x32_fp8_fp8 v[80:83], a[144:145], v[20:21], 0// 000000014078: D3F30050 0A022990
	v_mfma_f32_16x16x32_fp8_fp8 v[76:79], a[130:131], v[22:23], v[76:79]// 000000014080: D3F3004C 0D322D82
	buffer_load_dwordx4 a[112:115], v227, s[16:19], 0 offen offset:1024// 000000014088: E05C1400 808470E3
	v_mfma_f32_16x16x32_fp8_fp8 v[80:83], a[146:147], v[22:23], v[80:83]// 000000014090: D3F30050 0D422D92
	s_waitcnt lgkmcnt(10)                                      // 000000014098: BF8CCA7F
	v_mfma_f32_16x16x32_fp8_fp8 v[76:79], a[132:133], v[24:25], v[76:79]// 00000001409C: D3F3004C 0D323184
	v_mfma_f32_16x16x32_fp8_fp8 v[80:83], a[148:149], v[24:25], v[80:83]// 0000000140A4: D3F30050 0D423194
	v_mfma_f32_16x16x32_fp8_fp8 v[76:79], a[134:135], v[26:27], v[76:79]// 0000000140AC: D3F3004C 0D323586
	buffer_load_dwordx4 a[116:119], v228, s[16:19], 0 offen offset:1024// 0000000140B4: E05C1400 808474E4
	v_mfma_f32_16x16x32_fp8_fp8 v[80:83], a[150:151], v[26:27], v[80:83]// 0000000140BC: D3F30050 0D423596
	s_waitcnt lgkmcnt(9)                                       // 0000000140C4: BF8CC97F
	v_mfma_f32_16x16x32_fp8_fp8 v[76:79], a[136:137], v[28:29], v[76:79]// 0000000140C8: D3F3004C 0D323988
	v_mfma_f32_16x16x32_fp8_fp8 v[80:83], a[152:153], v[28:29], v[80:83]// 0000000140D0: D3F30050 0D423998
	v_mfma_f32_16x16x32_fp8_fp8 v[76:79], a[138:139], v[30:31], v[76:79]// 0000000140D8: D3F3004C 0D323D8A
	buffer_load_dwordx4 a[120:123], v229, s[16:19], 0 offen offset:1024// 0000000140E0: E05C1400 808478E5
	v_mfma_f32_16x16x32_fp8_fp8 v[80:83], a[154:155], v[30:31], v[80:83]// 0000000140E8: D3F30050 0D423D9A
	s_waitcnt lgkmcnt(8)                                       // 0000000140F0: BF8CC87F
	v_mfma_f32_16x16x32_fp8_fp8 v[76:79], a[140:141], v[32:33], v[76:79]// 0000000140F4: D3F3004C 0D32418C
	v_mfma_f32_16x16x32_fp8_fp8 v[80:83], a[156:157], v[32:33], v[80:83]// 0000000140FC: D3F30050 0D42419C
	v_mfma_f32_16x16x32_fp8_fp8 v[76:79], a[142:143], v[34:35], v[76:79]// 000000014104: D3F3004C 0D32458E
	buffer_load_dwordx4 a[124:127], v230, s[16:19], 0 offen offset:1024// 00000001410C: E05C1400 80847CE6
	v_mfma_f32_16x16x32_fp8_fp8 v[80:83], a[158:159], v[34:35], v[80:83]// 000000014114: D3F30050 0D42459E
	s_waitcnt lgkmcnt(7)                                       // 00000001411C: BF8CC77F
	v_mfma_f32_16x16x32_fp8_fp8 v[84:87], a[128:129], v[36:37], 0// 000000014120: D3F30054 0A024980
	v_mfma_f32_16x16x32_fp8_fp8 v[88:91], a[144:145], v[36:37], 0// 000000014128: D3F30058 0A024990
	v_mfma_f32_16x16x32_fp8_fp8 v[84:87], a[130:131], v[38:39], v[84:87]// 000000014130: D3F30054 0D524D82
	v_mfma_f32_16x16x32_fp8_fp8 v[88:91], a[146:147], v[38:39], v[88:91]// 000000014138: D3F30058 0D624D92
	s_waitcnt lgkmcnt(6)                                       // 000000014140: BF8CC67F
	v_mfma_f32_16x16x32_fp8_fp8 v[84:87], a[132:133], v[40:41], v[84:87]// 000000014144: D3F30054 0D525184
	v_mfma_f32_16x16x32_fp8_fp8 v[88:91], a[148:149], v[40:41], v[88:91]// 00000001414C: D3F30058 0D625194
	v_mfma_f32_16x16x32_fp8_fp8 v[84:87], a[134:135], v[42:43], v[84:87]// 000000014154: D3F30054 0D525586
	v_mfma_f32_16x16x32_fp8_fp8 v[88:91], a[150:151], v[42:43], v[88:91]// 00000001415C: D3F30058 0D625596
	s_waitcnt lgkmcnt(5)                                       // 000000014164: BF8CC57F
	v_mfma_f32_16x16x32_fp8_fp8 v[84:87], a[136:137], v[44:45], v[84:87]// 000000014168: D3F30054 0D525988
	v_mfma_f32_16x16x32_fp8_fp8 v[88:91], a[152:153], v[44:45], v[88:91]// 000000014170: D3F30058 0D625998
	v_mfma_f32_16x16x32_fp8_fp8 v[84:87], a[138:139], v[46:47], v[84:87]// 000000014178: D3F30054 0D525D8A
	v_mfma_f32_16x16x32_fp8_fp8 v[88:91], a[154:155], v[46:47], v[88:91]// 000000014180: D3F30058 0D625D9A
	s_waitcnt lgkmcnt(4)                                       // 000000014188: BF8CC47F
	v_mfma_f32_16x16x32_fp8_fp8 v[84:87], a[140:141], v[48:49], v[84:87]// 00000001418C: D3F30054 0D52618C
	v_mfma_f32_16x16x32_fp8_fp8 v[88:91], a[156:157], v[48:49], v[88:91]// 000000014194: D3F30058 0D62619C
	v_mfma_f32_16x16x32_fp8_fp8 v[84:87], a[142:143], v[50:51], v[84:87]// 00000001419C: D3F30054 0D52658E
	v_mfma_f32_16x16x32_fp8_fp8 v[88:91], a[158:159], v[50:51], v[88:91]// 0000000141A4: D3F30058 0D62659E
	s_waitcnt lgkmcnt(3)                                       // 0000000141AC: BF8CC37F
	v_mfma_f32_16x16x32_fp8_fp8 v[92:95], a[128:129], v[52:53], 0// 0000000141B0: D3F3005C 0A026980
	v_mfma_f32_16x16x32_fp8_fp8 v[96:99], a[144:145], v[52:53], 0// 0000000141B8: D3F30060 0A026990
	v_mfma_f32_16x16x32_fp8_fp8 v[92:95], a[130:131], v[54:55], v[92:95]// 0000000141C0: D3F3005C 0D726D82
	v_mfma_f32_16x16x32_fp8_fp8 v[96:99], a[146:147], v[54:55], v[96:99]// 0000000141C8: D3F30060 0D826D92
	s_waitcnt lgkmcnt(2)                                       // 0000000141D0: BF8CC27F
	v_mfma_f32_16x16x32_fp8_fp8 v[92:95], a[132:133], v[56:57], v[92:95]// 0000000141D4: D3F3005C 0D727184
	v_mfma_f32_16x16x32_fp8_fp8 v[96:99], a[148:149], v[56:57], v[96:99]// 0000000141DC: D3F30060 0D827194
	v_mfma_f32_16x16x32_fp8_fp8 v[92:95], a[134:135], v[58:59], v[92:95]// 0000000141E4: D3F3005C 0D727586
	v_mfma_f32_16x16x32_fp8_fp8 v[96:99], a[150:151], v[58:59], v[96:99]// 0000000141EC: D3F30060 0D827596
	s_waitcnt lgkmcnt(1)                                       // 0000000141F4: BF8CC17F
	v_mfma_f32_16x16x32_fp8_fp8 v[92:95], a[136:137], v[60:61], v[92:95]// 0000000141F8: D3F3005C 0D727988
	v_mfma_f32_16x16x32_fp8_fp8 v[96:99], a[152:153], v[60:61], v[96:99]// 000000014200: D3F30060 0D827998
	v_mfma_f32_16x16x32_fp8_fp8 v[92:95], a[138:139], v[62:63], v[92:95]// 000000014208: D3F3005C 0D727D8A
	v_mfma_f32_16x16x32_fp8_fp8 v[96:99], a[154:155], v[62:63], v[96:99]// 000000014210: D3F30060 0D827D9A
	s_waitcnt lgkmcnt(0)                                       // 000000014218: BF8CC07F
	v_mfma_f32_16x16x32_fp8_fp8 v[92:95], a[140:141], v[64:65], v[92:95]// 00000001421C: D3F3005C 0D72818C
	v_mfma_f32_16x16x32_fp8_fp8 v[96:99], a[156:157], v[64:65], v[96:99]// 000000014224: D3F30060 0D82819C
	v_mfma_f32_16x16x32_fp8_fp8 v[92:95], a[142:143], v[66:67], v[92:95]// 00000001422C: D3F3005C 0D72858E
	v_mfma_f32_16x16x32_fp8_fp8 v[96:99], a[158:159], v[66:67], v[96:99]// 000000014234: D3F30060 0D82859E
	s_addk_i32 s64, 0x100                                      // 00000001423C: B7400100

0000000000014240 <label_4690>:
	s_cmp_lt_i32 s64, s62                                      // 000000014240: BF043E40
	s_cbranch_scc0 label_598E                                  // 000000014244: BF8412FC
	s_waitcnt vmcnt(10)                                        // 000000014248: BF8C0F7A
	v_mfma_f32_16x16x32_fp8_fp8 v[4:7], a[32:33], a[0:1], 0    // 00000001424C: D3F30004 1A020120
	s_add_u32 s12, s86, s69                                    // 000000014254: 800C4556
	s_addc_u32 s13, s87, 0                                     // 000000014258: 820D8057
	v_mfma_f32_16x16x32_fp8_fp8 v[4:7], a[34:35], a[2:3], v[4:7]// 00000001425C: D3F30004 1C120522
	s_add_u32 s16, s88, s70                                    // 000000014264: 80104658
	s_addc_u32 s17, s89, 0                                     // 000000014268: 82118059
	v_mfma_f32_16x16x32_fp8_fp8 v[4:7], a[36:37], a[4:5], v[4:7]// 00000001426C: D3F30004 1C120924
	buffer_load_dwordx4 a[64:67], v225, s[12:15], 0 offen      // 000000014274: E05C1000 808340E1
	v_mfma_f32_16x16x32_fp8_fp8 v[4:7], a[38:39], a[6:7], v[4:7]// 00000001427C: D3F30004 1C120D26
	s_add_u32 s20, s90, s71                                    // 000000014284: 8014475A
	s_addc_u32 s21, s91, 0                                     // 000000014288: 8215805B
	v_mfma_f32_16x16x32_fp8_fp8 v[8:11], a[40:41], a[0:1], 0   // 00000001428C: D3F30008 1A020128
	s_add_u32 s24, s92, s71                                    // 000000014294: 8018475C
	s_addc_u32 s25, s93, 0                                     // 000000014298: 8219805D
	v_mfma_f32_16x16x32_fp8_fp8 v[8:11], a[42:43], a[2:3], v[8:11]// 00000001429C: D3F30008 1C22052A
	s_mul_i32 s69, s59, s50                                    // 0000000142A4: 9245323B
	s_mul_i32 s71, s59, s66                                    // 0000000142A8: 9247423B
	v_mfma_f32_16x16x32_fp8_fp8 v[8:11], a[44:45], a[4:5], v[8:11]// 0000000142AC: D3F30008 1C22092C
	buffer_load_dwordx4 a[68:71], v226, s[12:15], 0 offen      // 0000000142B4: E05C1000 808344E2
	v_mfma_f32_16x16x32_fp8_fp8 v[8:11], a[46:47], a[6:7], v[8:11]// 0000000142BC: D3F30008 1C220D2E
	s_mul_i32 s54, s78, s51                                    // 0000000142C4: 9236334E
	s_add_u32 s69, s69, s54                                    // 0000000142C8: 80453645
	v_mfma_f32_16x16x32_fp8_fp8 v[12:15], a[48:49], a[0:1], 0  // 0000000142CC: D3F3000C 1A020130
	s_mov_b32 s70, s69                                         // 0000000142D4: BEC60045
	v_mfma_f32_16x16x32_fp8_fp8 v[12:15], a[50:51], a[2:3], v[12:15]// 0000000142D8: D3F3000C 1C320532
	s_mul_i32 s54, s78, s100                                   // 0000000142E0: 9236644E
	s_add_u32 s71, s71, s54                                    // 0000000142E4: 80473647
	v_mfma_f32_16x16x32_fp8_fp8 v[12:15], a[52:53], a[4:5], v[12:15]// 0000000142E8: D3F3000C 1C320934
	buffer_load_dwordx4 a[72:75], v225, s[12:15], 0 offen offset:1024// 0000000142F0: E05C1400 808348E1
	v_mfma_f32_16x16x32_fp8_fp8 v[12:15], a[54:55], a[6:7], v[12:15]// 0000000142F8: D3F3000C 1C320D36
	v_mfma_f32_16x16x32_fp8_fp8 v[16:19], a[56:57], a[0:1], 0  // 000000014300: D3F30010 1A020138
	v_mfma_f32_16x16x32_fp8_fp8 v[16:19], a[58:59], a[2:3], v[16:19]// 000000014308: D3F30010 1C42053A
	v_mfma_f32_16x16x32_fp8_fp8 v[16:19], a[60:61], a[4:5], v[16:19]// 000000014310: D3F30010 1C42093C
	buffer_load_dwordx4 a[76:79], v226, s[12:15], 0 offen offset:1024// 000000014318: E05C1400 80834CE2
	v_mfma_f32_16x16x32_fp8_fp8 v[16:19], a[62:63], a[6:7], v[16:19]// 000000014320: D3F30010 1C420D3E
	v_mfma_f32_16x16x32_fp8_fp8 v[20:23], a[32:33], a[8:9], 0  // 000000014328: D3F30014 1A021120
	v_mfma_f32_16x16x32_fp8_fp8 v[20:23], a[34:35], a[10:11], v[20:23]// 000000014330: D3F30014 1C521522
	v_mfma_f32_16x16x32_fp8_fp8 v[20:23], a[36:37], a[12:13], v[20:23]// 000000014338: D3F30014 1C521924
	buffer_load_dwordx4 a[80:83], v225, s[12:15], 0 offen offset:2048// 000000014340: E05C1800 808350E1
	v_mfma_f32_16x16x32_fp8_fp8 v[20:23], a[38:39], a[14:15], v[20:23]// 000000014348: D3F30014 1C521D26
	v_mfma_f32_16x16x32_fp8_fp8 v[24:27], a[40:41], a[8:9], 0  // 000000014350: D3F30018 1A021128
	v_mfma_f32_16x16x32_fp8_fp8 v[24:27], a[42:43], a[10:11], v[24:27]// 000000014358: D3F30018 1C62152A
	v_mfma_f32_16x16x32_fp8_fp8 v[24:27], a[44:45], a[12:13], v[24:27]// 000000014360: D3F30018 1C62192C
	buffer_load_dwordx4 a[84:87], v226, s[12:15], 0 offen offset:2048// 000000014368: E05C1800 808354E2
	v_mfma_f32_16x16x32_fp8_fp8 v[24:27], a[46:47], a[14:15], v[24:27]// 000000014370: D3F30018 1C621D2E
	v_mfma_f32_16x16x32_fp8_fp8 v[28:31], a[48:49], a[8:9], 0  // 000000014378: D3F3001C 1A021130
	v_mfma_f32_16x16x32_fp8_fp8 v[28:31], a[50:51], a[10:11], v[28:31]// 000000014380: D3F3001C 1C721532
	v_mfma_f32_16x16x32_fp8_fp8 v[28:31], a[52:53], a[12:13], v[28:31]// 000000014388: D3F3001C 1C721934
	buffer_load_dwordx4 a[88:91], v225, s[12:15], 0 offen offset:3072// 000000014390: E05C1C00 808358E1
	v_mfma_f32_16x16x32_fp8_fp8 v[28:31], a[54:55], a[14:15], v[28:31]// 000000014398: D3F3001C 1C721D36
	v_mfma_f32_16x16x32_fp8_fp8 v[32:35], a[56:57], a[8:9], 0  // 0000000143A0: D3F30020 1A021138
	v_mfma_f32_16x16x32_fp8_fp8 v[32:35], a[58:59], a[10:11], v[32:35]// 0000000143A8: D3F30020 1C82153A
	v_mfma_f32_16x16x32_fp8_fp8 v[32:35], a[60:61], a[12:13], v[32:35]// 0000000143B0: D3F30020 1C82193C
	buffer_load_dwordx4 a[92:95], v226, s[12:15], 0 offen offset:3072// 0000000143B8: E05C1C00 80835CE2
	v_mfma_f32_16x16x32_fp8_fp8 v[32:35], a[62:63], a[14:15], v[32:35]// 0000000143C0: D3F30020 1C821D3E
	v_mfma_f32_16x16x32_fp8_fp8 v[36:39], a[32:33], a[16:17], 0// 0000000143C8: D3F30024 1A022120
	v_mfma_f32_16x16x32_fp8_fp8 v[36:39], a[34:35], a[18:19], v[36:39]// 0000000143D0: D3F30024 1C922522
	v_mfma_f32_16x16x32_fp8_fp8 v[36:39], a[36:37], a[20:21], v[36:39]// 0000000143D8: D3F30024 1C922924
	v_mfma_f32_16x16x32_fp8_fp8 v[36:39], a[38:39], a[22:23], v[36:39]// 0000000143E0: D3F30024 1C922D26
	v_mfma_f32_16x16x32_fp8_fp8 v[40:43], a[40:41], a[16:17], 0// 0000000143E8: D3F30028 1A022128
	v_mfma_f32_16x16x32_fp8_fp8 v[40:43], a[42:43], a[18:19], v[40:43]// 0000000143F0: D3F30028 1CA2252A
	v_mfma_f32_16x16x32_fp8_fp8 v[40:43], a[44:45], a[20:21], v[40:43]// 0000000143F8: D3F30028 1CA2292C
	v_mfma_f32_16x16x32_fp8_fp8 v[40:43], a[46:47], a[22:23], v[40:43]// 000000014400: D3F30028 1CA22D2E
	v_mfma_f32_16x16x32_fp8_fp8 v[44:47], a[48:49], a[16:17], 0// 000000014408: D3F3002C 1A022130
	v_mfma_f32_16x16x32_fp8_fp8 v[44:47], a[50:51], a[18:19], v[44:47]// 000000014410: D3F3002C 1CB22532
	v_mfma_f32_16x16x32_fp8_fp8 v[44:47], a[52:53], a[20:21], v[44:47]// 000000014418: D3F3002C 1CB22934
	v_mfma_f32_16x16x32_fp8_fp8 v[44:47], a[54:55], a[22:23], v[44:47]// 000000014420: D3F3002C 1CB22D36
	v_mfma_f32_16x16x32_fp8_fp8 v[48:51], a[56:57], a[16:17], 0// 000000014428: D3F30030 1A022138
	v_mfma_f32_16x16x32_fp8_fp8 v[48:51], a[58:59], a[18:19], v[48:51]// 000000014430: D3F30030 1CC2253A
	v_mfma_f32_16x16x32_fp8_fp8 v[48:51], a[60:61], a[20:21], v[48:51]// 000000014438: D3F30030 1CC2293C
	v_mfma_f32_16x16x32_fp8_fp8 v[48:51], a[62:63], a[22:23], v[48:51]// 000000014440: D3F30030 1CC22D3E
	v_mfma_f32_16x16x32_fp8_fp8 v[52:55], a[32:33], a[24:25], 0// 000000014448: D3F30034 1A023120
	v_mfma_f32_16x16x32_fp8_fp8 v[52:55], a[34:35], a[26:27], v[52:55]// 000000014450: D3F30034 1CD23522
	v_mfma_f32_16x16x32_fp8_fp8 v[52:55], a[36:37], a[28:29], v[52:55]// 000000014458: D3F30034 1CD23924
	v_mfma_f32_16x16x32_fp8_fp8 v[52:55], a[38:39], a[30:31], v[52:55]// 000000014460: D3F30034 1CD23D26
	v_mfma_f32_16x16x32_fp8_fp8 v[56:59], a[40:41], a[24:25], 0// 000000014468: D3F30038 1A023128
	v_mfma_f32_16x16x32_fp8_fp8 v[56:59], a[42:43], a[26:27], v[56:59]// 000000014470: D3F30038 1CE2352A
	v_mfma_f32_16x16x32_fp8_fp8 v[56:59], a[44:45], a[28:29], v[56:59]// 000000014478: D3F30038 1CE2392C
	v_mfma_f32_16x16x32_fp8_fp8 v[56:59], a[46:47], a[30:31], v[56:59]// 000000014480: D3F30038 1CE23D2E
	v_mfma_f32_16x16x32_fp8_fp8 v[60:63], a[48:49], a[24:25], 0// 000000014488: D3F3003C 1A023130
	v_mfma_f32_16x16x32_fp8_fp8 v[60:63], a[50:51], a[26:27], v[60:63]// 000000014490: D3F3003C 1CF23532
	v_mfma_f32_16x16x32_fp8_fp8 v[60:63], a[52:53], a[28:29], v[60:63]// 000000014498: D3F3003C 1CF23934
	v_mfma_f32_16x16x32_fp8_fp8 v[60:63], a[54:55], a[30:31], v[60:63]// 0000000144A0: D3F3003C 1CF23D36
	v_mfma_f32_16x16x32_fp8_fp8 v[64:67], a[56:57], a[24:25], 0// 0000000144A8: D3F30040 1A023138
	v_mfma_f32_16x16x32_fp8_fp8 v[64:67], a[58:59], a[26:27], v[64:67]// 0000000144B0: D3F30040 1D02353A
	v_mfma_f32_16x16x32_fp8_fp8 v[64:67], a[60:61], a[28:29], v[64:67]// 0000000144B8: D3F30040 1D02393C
	v_mfma_f32_16x16x32_fp8_fp8 v[64:67], a[62:63], a[30:31], v[64:67]// 0000000144C0: D3F30040 1D023D3E
	s_waitcnt vmcnt(16)                                        // 0000000144C8: BF8C4F70
	v_pk_mul_f32 v[4:5], v[132:133], v[4:5]                    // 0000000144CC: D3B14004 18020984
	v_pk_mul_f32 v[6:7], v[132:133], v[6:7]                    // 0000000144D4: D3B14006 18020D84
	v_mul_f32_dpp v4, v140, v4 row_newbcast:0 row_mask:0xf bank_mask:0xf// 0000000144DC: 0A0808FA FF01508C
	v_mul_f32_dpp v5, v140, v5 row_newbcast:1 row_mask:0xf bank_mask:0xf// 0000000144E4: 0A0A0AFA FF01518C
	v_mul_f32_dpp v6, v140, v6 row_newbcast:2 row_mask:0xf bank_mask:0xf// 0000000144EC: 0A0C0CFA FF01528C
	v_mul_f32_dpp v7, v140, v7 row_newbcast:3 row_mask:0xf bank_mask:0xf// 0000000144F4: 0A0E0EFA FF01538C
	v_pk_mul_f32 v[8:9], v[132:133], v[8:9]                    // 0000000144FC: D3B14008 18021184
	v_pk_mul_f32 v[10:11], v[132:133], v[10:11]                // 000000014504: D3B1400A 18021584
	v_mul_f32_dpp v8, v140, v8 row_newbcast:4 row_mask:0xf bank_mask:0xf// 00000001450C: 0A1010FA FF01548C
	v_mul_f32_dpp v9, v140, v9 row_newbcast:5 row_mask:0xf bank_mask:0xf// 000000014514: 0A1212FA FF01558C
	v_mul_f32_dpp v10, v140, v10 row_newbcast:6 row_mask:0xf bank_mask:0xf// 00000001451C: 0A1414FA FF01568C
	v_mul_f32_dpp v11, v140, v11 row_newbcast:7 row_mask:0xf bank_mask:0xf// 000000014524: 0A1616FA FF01578C
	v_pk_mul_f32 v[12:13], v[132:133], v[12:13]                // 00000001452C: D3B1400C 18021984
	v_pk_mul_f32 v[14:15], v[132:133], v[14:15]                // 000000014534: D3B1400E 18021D84
	v_mul_f32_dpp v12, v140, v12 row_newbcast:8 row_mask:0xf bank_mask:0xf// 00000001453C: 0A1818FA FF01588C
	v_mul_f32_dpp v13, v140, v13 row_newbcast:9 row_mask:0xf bank_mask:0xf// 000000014544: 0A1A1AFA FF01598C
	v_mul_f32_dpp v14, v140, v14 row_newbcast:10 row_mask:0xf bank_mask:0xf// 00000001454C: 0A1C1CFA FF015A8C
	v_mul_f32_dpp v15, v140, v15 row_newbcast:11 row_mask:0xf bank_mask:0xf// 000000014554: 0A1E1EFA FF015B8C
	v_pk_mul_f32 v[16:17], v[132:133], v[16:17]                // 00000001455C: D3B14010 18022184
	v_pk_mul_f32 v[18:19], v[132:133], v[18:19]                // 000000014564: D3B14012 18022584
	v_mul_f32_dpp v16, v140, v16 row_newbcast:12 row_mask:0xf bank_mask:0xf// 00000001456C: 0A2020FA FF015C8C
	v_mul_f32_dpp v17, v140, v17 row_newbcast:13 row_mask:0xf bank_mask:0xf// 000000014574: 0A2222FA FF015D8C
	v_mul_f32_dpp v18, v140, v18 row_newbcast:14 row_mask:0xf bank_mask:0xf// 00000001457C: 0A2424FA FF015E8C
	v_mul_f32_dpp v19, v140, v19 row_newbcast:15 row_mask:0xf bank_mask:0xf// 000000014584: 0A2626FA FF015F8C
	v_pk_mul_f32 v[20:21], v[134:135], v[20:21]                // 00000001458C: D3B14014 18022986
	v_pk_mul_f32 v[22:23], v[134:135], v[22:23]                // 000000014594: D3B14016 18022D86
	v_mul_f32_dpp v20, v140, v20 row_newbcast:0 row_mask:0xf bank_mask:0xf// 00000001459C: 0A2828FA FF01508C
	v_mul_f32_dpp v21, v140, v21 row_newbcast:1 row_mask:0xf bank_mask:0xf// 0000000145A4: 0A2A2AFA FF01518C
	v_mul_f32_dpp v22, v140, v22 row_newbcast:2 row_mask:0xf bank_mask:0xf// 0000000145AC: 0A2C2CFA FF01528C
	v_mul_f32_dpp v23, v140, v23 row_newbcast:3 row_mask:0xf bank_mask:0xf// 0000000145B4: 0A2E2EFA FF01538C
	v_pk_mul_f32 v[24:25], v[134:135], v[24:25]                // 0000000145BC: D3B14018 18023186
	v_pk_mul_f32 v[26:27], v[134:135], v[26:27]                // 0000000145C4: D3B1401A 18023586
	v_mul_f32_dpp v24, v140, v24 row_newbcast:4 row_mask:0xf bank_mask:0xf// 0000000145CC: 0A3030FA FF01548C
	v_mul_f32_dpp v25, v140, v25 row_newbcast:5 row_mask:0xf bank_mask:0xf// 0000000145D4: 0A3232FA FF01558C
	v_mul_f32_dpp v26, v140, v26 row_newbcast:6 row_mask:0xf bank_mask:0xf// 0000000145DC: 0A3434FA FF01568C
	v_mul_f32_dpp v27, v140, v27 row_newbcast:7 row_mask:0xf bank_mask:0xf// 0000000145E4: 0A3636FA FF01578C
	v_pk_mul_f32 v[28:29], v[134:135], v[28:29]                // 0000000145EC: D3B1401C 18023986
	v_pk_mul_f32 v[30:31], v[134:135], v[30:31]                // 0000000145F4: D3B1401E 18023D86
	v_mul_f32_dpp v28, v140, v28 row_newbcast:8 row_mask:0xf bank_mask:0xf// 0000000145FC: 0A3838FA FF01588C
	v_mul_f32_dpp v29, v140, v29 row_newbcast:9 row_mask:0xf bank_mask:0xf// 000000014604: 0A3A3AFA FF01598C
	v_mul_f32_dpp v30, v140, v30 row_newbcast:10 row_mask:0xf bank_mask:0xf// 00000001460C: 0A3C3CFA FF015A8C
	v_mul_f32_dpp v31, v140, v31 row_newbcast:11 row_mask:0xf bank_mask:0xf// 000000014614: 0A3E3EFA FF015B8C
	v_pk_mul_f32 v[32:33], v[134:135], v[32:33]                // 00000001461C: D3B14020 18024186
	v_pk_mul_f32 v[34:35], v[134:135], v[34:35]                // 000000014624: D3B14022 18024586
	v_mul_f32_dpp v32, v140, v32 row_newbcast:12 row_mask:0xf bank_mask:0xf// 00000001462C: 0A4040FA FF015C8C
	v_mul_f32_dpp v33, v140, v33 row_newbcast:13 row_mask:0xf bank_mask:0xf// 000000014634: 0A4242FA FF015D8C
	v_mul_f32_dpp v34, v140, v34 row_newbcast:14 row_mask:0xf bank_mask:0xf// 00000001463C: 0A4444FA FF015E8C
	v_mul_f32_dpp v35, v140, v35 row_newbcast:15 row_mask:0xf bank_mask:0xf// 000000014644: 0A4646FA FF015F8C
	v_pk_mul_f32 v[36:37], v[136:137], v[36:37]                // 00000001464C: D3B14024 18024988
	v_pk_mul_f32 v[38:39], v[136:137], v[38:39]                // 000000014654: D3B14026 18024D88
	v_mul_f32_dpp v36, v140, v36 row_newbcast:0 row_mask:0xf bank_mask:0xf// 00000001465C: 0A4848FA FF01508C
	v_mul_f32_dpp v37, v140, v37 row_newbcast:1 row_mask:0xf bank_mask:0xf// 000000014664: 0A4A4AFA FF01518C
	v_mul_f32_dpp v38, v140, v38 row_newbcast:2 row_mask:0xf bank_mask:0xf// 00000001466C: 0A4C4CFA FF01528C
	v_mul_f32_dpp v39, v140, v39 row_newbcast:3 row_mask:0xf bank_mask:0xf// 000000014674: 0A4E4EFA FF01538C
	v_pk_mul_f32 v[40:41], v[136:137], v[40:41]                // 00000001467C: D3B14028 18025188
	v_pk_mul_f32 v[42:43], v[136:137], v[42:43]                // 000000014684: D3B1402A 18025588
	v_mul_f32_dpp v40, v140, v40 row_newbcast:4 row_mask:0xf bank_mask:0xf// 00000001468C: 0A5050FA FF01548C
	v_mul_f32_dpp v41, v140, v41 row_newbcast:5 row_mask:0xf bank_mask:0xf// 000000014694: 0A5252FA FF01558C
	v_mul_f32_dpp v42, v140, v42 row_newbcast:6 row_mask:0xf bank_mask:0xf// 00000001469C: 0A5454FA FF01568C
	v_mul_f32_dpp v43, v140, v43 row_newbcast:7 row_mask:0xf bank_mask:0xf// 0000000146A4: 0A5656FA FF01578C
	v_pk_mul_f32 v[44:45], v[136:137], v[44:45]                // 0000000146AC: D3B1402C 18025988
	v_pk_mul_f32 v[46:47], v[136:137], v[46:47]                // 0000000146B4: D3B1402E 18025D88
	v_mul_f32_dpp v44, v140, v44 row_newbcast:8 row_mask:0xf bank_mask:0xf// 0000000146BC: 0A5858FA FF01588C
	v_mul_f32_dpp v45, v140, v45 row_newbcast:9 row_mask:0xf bank_mask:0xf// 0000000146C4: 0A5A5AFA FF01598C
	v_mul_f32_dpp v46, v140, v46 row_newbcast:10 row_mask:0xf bank_mask:0xf// 0000000146CC: 0A5C5CFA FF015A8C
	v_mul_f32_dpp v47, v140, v47 row_newbcast:11 row_mask:0xf bank_mask:0xf// 0000000146D4: 0A5E5EFA FF015B8C
	v_pk_mul_f32 v[48:49], v[136:137], v[48:49]                // 0000000146DC: D3B14030 18026188
	v_pk_mul_f32 v[50:51], v[136:137], v[50:51]                // 0000000146E4: D3B14032 18026588
	v_mul_f32_dpp v48, v140, v48 row_newbcast:12 row_mask:0xf bank_mask:0xf// 0000000146EC: 0A6060FA FF015C8C
	v_mul_f32_dpp v49, v140, v49 row_newbcast:13 row_mask:0xf bank_mask:0xf// 0000000146F4: 0A6262FA FF015D8C
	v_mul_f32_dpp v50, v140, v50 row_newbcast:14 row_mask:0xf bank_mask:0xf// 0000000146FC: 0A6464FA FF015E8C
	v_mul_f32_dpp v51, v140, v51 row_newbcast:15 row_mask:0xf bank_mask:0xf// 000000014704: 0A6666FA FF015F8C
	v_pk_mul_f32 v[52:53], v[138:139], v[52:53]                // 00000001470C: D3B14034 1802698A
	v_pk_mul_f32 v[54:55], v[138:139], v[54:55]                // 000000014714: D3B14036 18026D8A
	v_mul_f32_dpp v52, v140, v52 row_newbcast:0 row_mask:0xf bank_mask:0xf// 00000001471C: 0A6868FA FF01508C
	v_mul_f32_dpp v53, v140, v53 row_newbcast:1 row_mask:0xf bank_mask:0xf// 000000014724: 0A6A6AFA FF01518C
	v_mul_f32_dpp v54, v140, v54 row_newbcast:2 row_mask:0xf bank_mask:0xf// 00000001472C: 0A6C6CFA FF01528C
	v_mul_f32_dpp v55, v140, v55 row_newbcast:3 row_mask:0xf bank_mask:0xf// 000000014734: 0A6E6EFA FF01538C
	v_pk_mul_f32 v[56:57], v[138:139], v[56:57]                // 00000001473C: D3B14038 1802718A
	v_pk_mul_f32 v[58:59], v[138:139], v[58:59]                // 000000014744: D3B1403A 1802758A
	v_mul_f32_dpp v56, v140, v56 row_newbcast:4 row_mask:0xf bank_mask:0xf// 00000001474C: 0A7070FA FF01548C
	v_mul_f32_dpp v57, v140, v57 row_newbcast:5 row_mask:0xf bank_mask:0xf// 000000014754: 0A7272FA FF01558C
	v_mul_f32_dpp v58, v140, v58 row_newbcast:6 row_mask:0xf bank_mask:0xf// 00000001475C: 0A7474FA FF01568C
	v_mul_f32_dpp v59, v140, v59 row_newbcast:7 row_mask:0xf bank_mask:0xf// 000000014764: 0A7676FA FF01578C
	v_pk_mul_f32 v[60:61], v[138:139], v[60:61]                // 00000001476C: D3B1403C 1802798A
	v_pk_mul_f32 v[62:63], v[138:139], v[62:63]                // 000000014774: D3B1403E 18027D8A
	v_mul_f32_dpp v60, v140, v60 row_newbcast:8 row_mask:0xf bank_mask:0xf// 00000001477C: 0A7878FA FF01588C
	v_mul_f32_dpp v61, v140, v61 row_newbcast:9 row_mask:0xf bank_mask:0xf// 000000014784: 0A7A7AFA FF01598C
	v_mul_f32_dpp v62, v140, v62 row_newbcast:10 row_mask:0xf bank_mask:0xf// 00000001478C: 0A7C7CFA FF015A8C
	v_mul_f32_dpp v63, v140, v63 row_newbcast:11 row_mask:0xf bank_mask:0xf// 000000014794: 0A7E7EFA FF015B8C
	v_pk_mul_f32 v[64:65], v[138:139], v[64:65]                // 00000001479C: D3B14040 1802818A
	v_pk_mul_f32 v[66:67], v[138:139], v[66:67]                // 0000000147A4: D3B14042 1802858A
	v_mul_f32_dpp v64, v140, v64 row_newbcast:12 row_mask:0xf bank_mask:0xf// 0000000147AC: 0A8080FA FF015C8C
	v_mul_f32_dpp v65, v140, v65 row_newbcast:13 row_mask:0xf bank_mask:0xf// 0000000147B4: 0A8282FA FF015D8C
	v_mul_f32_dpp v66, v140, v66 row_newbcast:14 row_mask:0xf bank_mask:0xf// 0000000147BC: 0A8484FA FF015E8C
	v_mul_f32_dpp v67, v140, v67 row_newbcast:15 row_mask:0xf bank_mask:0xf// 0000000147C4: 0A8686FA FF015F8C
	v_add_u32_e32 v196, s64, v215                              // 0000000147CC: 6989AE40
	v_add_u32_e32 v197, 0, v196                                // 0000000147D0: 698B8880
	v_cmp_lt_u32_e64 s[98:99], v197, v211                      // 0000000147D4: D0C90062 0003A7C5
	s_nop 0                                                    // 0000000147DC: BF800000
	v_cndmask_b32_e64 v4, v216, v4, s[98:99]                   // 0000000147E0: D1000004 018A09D8
	v_add_u32_e32 v197, 1, v196                                // 0000000147E8: 698B8881
	v_cmp_lt_u32_e64 s[98:99], v197, v211                      // 0000000147EC: D0C90062 0003A7C5
	s_nop 0                                                    // 0000000147F4: BF800000
	v_cndmask_b32_e64 v5, v216, v5, s[98:99]                   // 0000000147F8: D1000005 018A0BD8
	v_add_u32_e32 v197, 2, v196                                // 000000014800: 698B8882
	v_cmp_lt_u32_e64 s[98:99], v197, v211                      // 000000014804: D0C90062 0003A7C5
	s_nop 0                                                    // 00000001480C: BF800000
	v_cndmask_b32_e64 v6, v216, v6, s[98:99]                   // 000000014810: D1000006 018A0DD8
	v_add_u32_e32 v197, 3, v196                                // 000000014818: 698B8883
	v_cmp_lt_u32_e64 s[98:99], v197, v211                      // 00000001481C: D0C90062 0003A7C5
	s_nop 0                                                    // 000000014824: BF800000
	v_cndmask_b32_e64 v7, v216, v7, s[98:99]                   // 000000014828: D1000007 018A0FD8
	v_add_u32_e32 v197, 64, v196                               // 000000014830: 698B88C0
	v_cmp_lt_u32_e64 s[98:99], v197, v211                      // 000000014834: D0C90062 0003A7C5
	s_nop 0                                                    // 00000001483C: BF800000
	v_cndmask_b32_e64 v8, v216, v8, s[98:99]                   // 000000014840: D1000008 018A11D8
	v_add_u32_e32 v197, 0x41, v196                             // 000000014848: 698B88FF 00000041
	v_cmp_lt_u32_e64 s[98:99], v197, v211                      // 000000014850: D0C90062 0003A7C5
	s_nop 0                                                    // 000000014858: BF800000
	v_cndmask_b32_e64 v9, v216, v9, s[98:99]                   // 00000001485C: D1000009 018A13D8
	v_add_u32_e32 v197, 0x42, v196                             // 000000014864: 698B88FF 00000042
	v_cmp_lt_u32_e64 s[98:99], v197, v211                      // 00000001486C: D0C90062 0003A7C5
	s_nop 0                                                    // 000000014874: BF800000
	v_cndmask_b32_e64 v10, v216, v10, s[98:99]                 // 000000014878: D100000A 018A15D8
	v_add_u32_e32 v197, 0x43, v196                             // 000000014880: 698B88FF 00000043
	v_cmp_lt_u32_e64 s[98:99], v197, v211                      // 000000014888: D0C90062 0003A7C5
	s_nop 0                                                    // 000000014890: BF800000
	v_cndmask_b32_e64 v11, v216, v11, s[98:99]                 // 000000014894: D100000B 018A17D8
	v_add_u32_e32 v197, 0x80, v196                             // 00000001489C: 698B88FF 00000080
	v_cmp_lt_u32_e64 s[98:99], v197, v211                      // 0000000148A4: D0C90062 0003A7C5
	s_nop 0                                                    // 0000000148AC: BF800000
	v_cndmask_b32_e64 v12, v216, v12, s[98:99]                 // 0000000148B0: D100000C 018A19D8
	v_add_u32_e32 v197, 0x81, v196                             // 0000000148B8: 698B88FF 00000081
	v_cmp_lt_u32_e64 s[98:99], v197, v211                      // 0000000148C0: D0C90062 0003A7C5
	s_nop 0                                                    // 0000000148C8: BF800000
	v_cndmask_b32_e64 v13, v216, v13, s[98:99]                 // 0000000148CC: D100000D 018A1BD8
	v_add_u32_e32 v197, 0x82, v196                             // 0000000148D4: 698B88FF 00000082
	v_cmp_lt_u32_e64 s[98:99], v197, v211                      // 0000000148DC: D0C90062 0003A7C5
	s_nop 0                                                    // 0000000148E4: BF800000
	v_cndmask_b32_e64 v14, v216, v14, s[98:99]                 // 0000000148E8: D100000E 018A1DD8
	v_add_u32_e32 v197, 0x83, v196                             // 0000000148F0: 698B88FF 00000083
	v_cmp_lt_u32_e64 s[98:99], v197, v211                      // 0000000148F8: D0C90062 0003A7C5
	s_nop 0                                                    // 000000014900: BF800000
	v_cndmask_b32_e64 v15, v216, v15, s[98:99]                 // 000000014904: D100000F 018A1FD8
	v_add_u32_e32 v197, 0xc0, v196                             // 00000001490C: 698B88FF 000000C0
	v_cmp_lt_u32_e64 s[98:99], v197, v211                      // 000000014914: D0C90062 0003A7C5
	s_nop 0                                                    // 00000001491C: BF800000
	v_cndmask_b32_e64 v16, v216, v16, s[98:99]                 // 000000014920: D1000010 018A21D8
	v_add_u32_e32 v197, 0xc1, v196                             // 000000014928: 698B88FF 000000C1
	v_cmp_lt_u32_e64 s[98:99], v197, v211                      // 000000014930: D0C90062 0003A7C5
	s_nop 0                                                    // 000000014938: BF800000
	v_cndmask_b32_e64 v17, v216, v17, s[98:99]                 // 00000001493C: D1000011 018A23D8
	v_add_u32_e32 v197, 0xc2, v196                             // 000000014944: 698B88FF 000000C2
	v_cmp_lt_u32_e64 s[98:99], v197, v211                      // 00000001494C: D0C90062 0003A7C5
	s_nop 0                                                    // 000000014954: BF800000
	v_cndmask_b32_e64 v18, v216, v18, s[98:99]                 // 000000014958: D1000012 018A25D8
	v_add_u32_e32 v197, 0xc3, v196                             // 000000014960: 698B88FF 000000C3
	v_cmp_lt_u32_e64 s[98:99], v197, v211                      // 000000014968: D0C90062 0003A7C5
	s_nop 0                                                    // 000000014970: BF800000
	v_cndmask_b32_e64 v19, v216, v19, s[98:99]                 // 000000014974: D1000013 018A27D8
	v_add_u32_e32 v197, 0, v196                                // 00000001497C: 698B8880
	v_cmp_lt_u32_e64 s[98:99], v197, v212                      // 000000014980: D0C90062 0003A9C5
	s_nop 0                                                    // 000000014988: BF800000
	v_cndmask_b32_e64 v20, v216, v20, s[98:99]                 // 00000001498C: D1000014 018A29D8
	v_add_u32_e32 v197, 1, v196                                // 000000014994: 698B8881
	v_cmp_lt_u32_e64 s[98:99], v197, v212                      // 000000014998: D0C90062 0003A9C5
	s_nop 0                                                    // 0000000149A0: BF800000
	v_cndmask_b32_e64 v21, v216, v21, s[98:99]                 // 0000000149A4: D1000015 018A2BD8
	v_add_u32_e32 v197, 2, v196                                // 0000000149AC: 698B8882
	v_cmp_lt_u32_e64 s[98:99], v197, v212                      // 0000000149B0: D0C90062 0003A9C5
	s_nop 0                                                    // 0000000149B8: BF800000
	v_cndmask_b32_e64 v22, v216, v22, s[98:99]                 // 0000000149BC: D1000016 018A2DD8
	v_add_u32_e32 v197, 3, v196                                // 0000000149C4: 698B8883
	v_cmp_lt_u32_e64 s[98:99], v197, v212                      // 0000000149C8: D0C90062 0003A9C5
	s_nop 0                                                    // 0000000149D0: BF800000
	v_cndmask_b32_e64 v23, v216, v23, s[98:99]                 // 0000000149D4: D1000017 018A2FD8
	v_add_u32_e32 v197, 64, v196                               // 0000000149DC: 698B88C0
	v_cmp_lt_u32_e64 s[98:99], v197, v212                      // 0000000149E0: D0C90062 0003A9C5
	s_nop 0                                                    // 0000000149E8: BF800000
	v_cndmask_b32_e64 v24, v216, v24, s[98:99]                 // 0000000149EC: D1000018 018A31D8
	v_add_u32_e32 v197, 0x41, v196                             // 0000000149F4: 698B88FF 00000041
	v_cmp_lt_u32_e64 s[98:99], v197, v212                      // 0000000149FC: D0C90062 0003A9C5
	s_nop 0                                                    // 000000014A04: BF800000
	v_cndmask_b32_e64 v25, v216, v25, s[98:99]                 // 000000014A08: D1000019 018A33D8
	v_add_u32_e32 v197, 0x42, v196                             // 000000014A10: 698B88FF 00000042
	v_cmp_lt_u32_e64 s[98:99], v197, v212                      // 000000014A18: D0C90062 0003A9C5
	s_nop 0                                                    // 000000014A20: BF800000
	v_cndmask_b32_e64 v26, v216, v26, s[98:99]                 // 000000014A24: D100001A 018A35D8
	v_add_u32_e32 v197, 0x43, v196                             // 000000014A2C: 698B88FF 00000043
	v_cmp_lt_u32_e64 s[98:99], v197, v212                      // 000000014A34: D0C90062 0003A9C5
	s_nop 0                                                    // 000000014A3C: BF800000
	v_cndmask_b32_e64 v27, v216, v27, s[98:99]                 // 000000014A40: D100001B 018A37D8
	v_add_u32_e32 v197, 0x80, v196                             // 000000014A48: 698B88FF 00000080
	v_cmp_lt_u32_e64 s[98:99], v197, v212                      // 000000014A50: D0C90062 0003A9C5
	s_nop 0                                                    // 000000014A58: BF800000
	v_cndmask_b32_e64 v28, v216, v28, s[98:99]                 // 000000014A5C: D100001C 018A39D8
	v_add_u32_e32 v197, 0x81, v196                             // 000000014A64: 698B88FF 00000081
	v_cmp_lt_u32_e64 s[98:99], v197, v212                      // 000000014A6C: D0C90062 0003A9C5
	s_nop 0                                                    // 000000014A74: BF800000
	v_cndmask_b32_e64 v29, v216, v29, s[98:99]                 // 000000014A78: D100001D 018A3BD8
	v_add_u32_e32 v197, 0x82, v196                             // 000000014A80: 698B88FF 00000082
	v_cmp_lt_u32_e64 s[98:99], v197, v212                      // 000000014A88: D0C90062 0003A9C5
	s_nop 0                                                    // 000000014A90: BF800000
	v_cndmask_b32_e64 v30, v216, v30, s[98:99]                 // 000000014A94: D100001E 018A3DD8
	v_add_u32_e32 v197, 0x83, v196                             // 000000014A9C: 698B88FF 00000083
	v_cmp_lt_u32_e64 s[98:99], v197, v212                      // 000000014AA4: D0C90062 0003A9C5
	s_nop 0                                                    // 000000014AAC: BF800000
	v_cndmask_b32_e64 v31, v216, v31, s[98:99]                 // 000000014AB0: D100001F 018A3FD8
	v_add_u32_e32 v197, 0xc0, v196                             // 000000014AB8: 698B88FF 000000C0
	v_cmp_lt_u32_e64 s[98:99], v197, v212                      // 000000014AC0: D0C90062 0003A9C5
	s_nop 0                                                    // 000000014AC8: BF800000
	v_cndmask_b32_e64 v32, v216, v32, s[98:99]                 // 000000014ACC: D1000020 018A41D8
	v_add_u32_e32 v197, 0xc1, v196                             // 000000014AD4: 698B88FF 000000C1
	v_cmp_lt_u32_e64 s[98:99], v197, v212                      // 000000014ADC: D0C90062 0003A9C5
	s_nop 0                                                    // 000000014AE4: BF800000
	v_cndmask_b32_e64 v33, v216, v33, s[98:99]                 // 000000014AE8: D1000021 018A43D8
	v_add_u32_e32 v197, 0xc2, v196                             // 000000014AF0: 698B88FF 000000C2
	v_cmp_lt_u32_e64 s[98:99], v197, v212                      // 000000014AF8: D0C90062 0003A9C5
	s_nop 0                                                    // 000000014B00: BF800000
	v_cndmask_b32_e64 v34, v216, v34, s[98:99]                 // 000000014B04: D1000022 018A45D8
	v_add_u32_e32 v197, 0xc3, v196                             // 000000014B0C: 698B88FF 000000C3
	v_cmp_lt_u32_e64 s[98:99], v197, v212                      // 000000014B14: D0C90062 0003A9C5
	s_nop 0                                                    // 000000014B1C: BF800000
	v_cndmask_b32_e64 v35, v216, v35, s[98:99]                 // 000000014B20: D1000023 018A47D8
	v_add_u32_e32 v197, 0, v196                                // 000000014B28: 698B8880
	v_cmp_lt_u32_e64 s[98:99], v197, v213                      // 000000014B2C: D0C90062 0003ABC5
	s_nop 0                                                    // 000000014B34: BF800000
	v_cndmask_b32_e64 v36, v216, v36, s[98:99]                 // 000000014B38: D1000024 018A49D8
	v_add_u32_e32 v197, 1, v196                                // 000000014B40: 698B8881
	v_cmp_lt_u32_e64 s[98:99], v197, v213                      // 000000014B44: D0C90062 0003ABC5
	s_nop 0                                                    // 000000014B4C: BF800000
	v_cndmask_b32_e64 v37, v216, v37, s[98:99]                 // 000000014B50: D1000025 018A4BD8
	v_add_u32_e32 v197, 2, v196                                // 000000014B58: 698B8882
	v_cmp_lt_u32_e64 s[98:99], v197, v213                      // 000000014B5C: D0C90062 0003ABC5
	s_nop 0                                                    // 000000014B64: BF800000
	v_cndmask_b32_e64 v38, v216, v38, s[98:99]                 // 000000014B68: D1000026 018A4DD8
	v_add_u32_e32 v197, 3, v196                                // 000000014B70: 698B8883
	v_cmp_lt_u32_e64 s[98:99], v197, v213                      // 000000014B74: D0C90062 0003ABC5
	s_nop 0                                                    // 000000014B7C: BF800000
	v_cndmask_b32_e64 v39, v216, v39, s[98:99]                 // 000000014B80: D1000027 018A4FD8
	v_add_u32_e32 v197, 64, v196                               // 000000014B88: 698B88C0
	v_cmp_lt_u32_e64 s[98:99], v197, v213                      // 000000014B8C: D0C90062 0003ABC5
	s_nop 0                                                    // 000000014B94: BF800000
	v_cndmask_b32_e64 v40, v216, v40, s[98:99]                 // 000000014B98: D1000028 018A51D8
	v_add_u32_e32 v197, 0x41, v196                             // 000000014BA0: 698B88FF 00000041
	v_cmp_lt_u32_e64 s[98:99], v197, v213                      // 000000014BA8: D0C90062 0003ABC5
	s_nop 0                                                    // 000000014BB0: BF800000
	v_cndmask_b32_e64 v41, v216, v41, s[98:99]                 // 000000014BB4: D1000029 018A53D8
	v_add_u32_e32 v197, 0x42, v196                             // 000000014BBC: 698B88FF 00000042
	v_cmp_lt_u32_e64 s[98:99], v197, v213                      // 000000014BC4: D0C90062 0003ABC5
	s_nop 0                                                    // 000000014BCC: BF800000
	v_cndmask_b32_e64 v42, v216, v42, s[98:99]                 // 000000014BD0: D100002A 018A55D8
	v_add_u32_e32 v197, 0x43, v196                             // 000000014BD8: 698B88FF 00000043
	v_cmp_lt_u32_e64 s[98:99], v197, v213                      // 000000014BE0: D0C90062 0003ABC5
	s_nop 0                                                    // 000000014BE8: BF800000
	v_cndmask_b32_e64 v43, v216, v43, s[98:99]                 // 000000014BEC: D100002B 018A57D8
	v_add_u32_e32 v197, 0x80, v196                             // 000000014BF4: 698B88FF 00000080
	v_cmp_lt_u32_e64 s[98:99], v197, v213                      // 000000014BFC: D0C90062 0003ABC5
	s_nop 0                                                    // 000000014C04: BF800000
	v_cndmask_b32_e64 v44, v216, v44, s[98:99]                 // 000000014C08: D100002C 018A59D8
	v_add_u32_e32 v197, 0x81, v196                             // 000000014C10: 698B88FF 00000081
	v_cmp_lt_u32_e64 s[98:99], v197, v213                      // 000000014C18: D0C90062 0003ABC5
	s_nop 0                                                    // 000000014C20: BF800000
	v_cndmask_b32_e64 v45, v216, v45, s[98:99]                 // 000000014C24: D100002D 018A5BD8
	v_add_u32_e32 v197, 0x82, v196                             // 000000014C2C: 698B88FF 00000082
	v_cmp_lt_u32_e64 s[98:99], v197, v213                      // 000000014C34: D0C90062 0003ABC5
	s_nop 0                                                    // 000000014C3C: BF800000
	v_cndmask_b32_e64 v46, v216, v46, s[98:99]                 // 000000014C40: D100002E 018A5DD8
	v_add_u32_e32 v197, 0x83, v196                             // 000000014C48: 698B88FF 00000083
	v_cmp_lt_u32_e64 s[98:99], v197, v213                      // 000000014C50: D0C90062 0003ABC5
	s_nop 0                                                    // 000000014C58: BF800000
	v_cndmask_b32_e64 v47, v216, v47, s[98:99]                 // 000000014C5C: D100002F 018A5FD8
	v_add_u32_e32 v197, 0xc0, v196                             // 000000014C64: 698B88FF 000000C0
	v_cmp_lt_u32_e64 s[98:99], v197, v213                      // 000000014C6C: D0C90062 0003ABC5
	s_nop 0                                                    // 000000014C74: BF800000
	v_cndmask_b32_e64 v48, v216, v48, s[98:99]                 // 000000014C78: D1000030 018A61D8
	v_add_u32_e32 v197, 0xc1, v196                             // 000000014C80: 698B88FF 000000C1
	v_cmp_lt_u32_e64 s[98:99], v197, v213                      // 000000014C88: D0C90062 0003ABC5
	s_nop 0                                                    // 000000014C90: BF800000
	v_cndmask_b32_e64 v49, v216, v49, s[98:99]                 // 000000014C94: D1000031 018A63D8
	v_add_u32_e32 v197, 0xc2, v196                             // 000000014C9C: 698B88FF 000000C2
	v_cmp_lt_u32_e64 s[98:99], v197, v213                      // 000000014CA4: D0C90062 0003ABC5
	s_nop 0                                                    // 000000014CAC: BF800000
	v_cndmask_b32_e64 v50, v216, v50, s[98:99]                 // 000000014CB0: D1000032 018A65D8
	v_add_u32_e32 v197, 0xc3, v196                             // 000000014CB8: 698B88FF 000000C3
	v_cmp_lt_u32_e64 s[98:99], v197, v213                      // 000000014CC0: D0C90062 0003ABC5
	s_nop 0                                                    // 000000014CC8: BF800000
	v_cndmask_b32_e64 v51, v216, v51, s[98:99]                 // 000000014CCC: D1000033 018A67D8
	v_add_u32_e32 v197, 0, v196                                // 000000014CD4: 698B8880
	v_cmp_lt_u32_e64 s[98:99], v197, v214                      // 000000014CD8: D0C90062 0003ADC5
	s_nop 0                                                    // 000000014CE0: BF800000
	v_cndmask_b32_e64 v52, v216, v52, s[98:99]                 // 000000014CE4: D1000034 018A69D8
	v_add_u32_e32 v197, 1, v196                                // 000000014CEC: 698B8881
	v_cmp_lt_u32_e64 s[98:99], v197, v214                      // 000000014CF0: D0C90062 0003ADC5
	s_nop 0                                                    // 000000014CF8: BF800000
	v_cndmask_b32_e64 v53, v216, v53, s[98:99]                 // 000000014CFC: D1000035 018A6BD8
	v_add_u32_e32 v197, 2, v196                                // 000000014D04: 698B8882
	v_cmp_lt_u32_e64 s[98:99], v197, v214                      // 000000014D08: D0C90062 0003ADC5
	s_nop 0                                                    // 000000014D10: BF800000
	v_cndmask_b32_e64 v54, v216, v54, s[98:99]                 // 000000014D14: D1000036 018A6DD8
	v_add_u32_e32 v197, 3, v196                                // 000000014D1C: 698B8883
	v_cmp_lt_u32_e64 s[98:99], v197, v214                      // 000000014D20: D0C90062 0003ADC5
	s_nop 0                                                    // 000000014D28: BF800000
	v_cndmask_b32_e64 v55, v216, v55, s[98:99]                 // 000000014D2C: D1000037 018A6FD8
	v_add_u32_e32 v197, 64, v196                               // 000000014D34: 698B88C0
	v_cmp_lt_u32_e64 s[98:99], v197, v214                      // 000000014D38: D0C90062 0003ADC5
	s_nop 0                                                    // 000000014D40: BF800000
	v_cndmask_b32_e64 v56, v216, v56, s[98:99]                 // 000000014D44: D1000038 018A71D8
	v_add_u32_e32 v197, 0x41, v196                             // 000000014D4C: 698B88FF 00000041
	v_cmp_lt_u32_e64 s[98:99], v197, v214                      // 000000014D54: D0C90062 0003ADC5
	s_nop 0                                                    // 000000014D5C: BF800000
	v_cndmask_b32_e64 v57, v216, v57, s[98:99]                 // 000000014D60: D1000039 018A73D8
	v_add_u32_e32 v197, 0x42, v196                             // 000000014D68: 698B88FF 00000042
	v_cmp_lt_u32_e64 s[98:99], v197, v214                      // 000000014D70: D0C90062 0003ADC5
	s_nop 0                                                    // 000000014D78: BF800000
	v_cndmask_b32_e64 v58, v216, v58, s[98:99]                 // 000000014D7C: D100003A 018A75D8
	v_add_u32_e32 v197, 0x43, v196                             // 000000014D84: 698B88FF 00000043
	v_cmp_lt_u32_e64 s[98:99], v197, v214                      // 000000014D8C: D0C90062 0003ADC5
	s_nop 0                                                    // 000000014D94: BF800000
	v_cndmask_b32_e64 v59, v216, v59, s[98:99]                 // 000000014D98: D100003B 018A77D8
	v_add_u32_e32 v197, 0x80, v196                             // 000000014DA0: 698B88FF 00000080
	v_cmp_lt_u32_e64 s[98:99], v197, v214                      // 000000014DA8: D0C90062 0003ADC5
	s_nop 0                                                    // 000000014DB0: BF800000
	v_cndmask_b32_e64 v60, v216, v60, s[98:99]                 // 000000014DB4: D100003C 018A79D8
	v_add_u32_e32 v197, 0x81, v196                             // 000000014DBC: 698B88FF 00000081
	v_cmp_lt_u32_e64 s[98:99], v197, v214                      // 000000014DC4: D0C90062 0003ADC5
	s_nop 0                                                    // 000000014DCC: BF800000
	v_cndmask_b32_e64 v61, v216, v61, s[98:99]                 // 000000014DD0: D100003D 018A7BD8
	v_add_u32_e32 v197, 0x82, v196                             // 000000014DD8: 698B88FF 00000082
	v_cmp_lt_u32_e64 s[98:99], v197, v214                      // 000000014DE0: D0C90062 0003ADC5
	s_nop 0                                                    // 000000014DE8: BF800000
	v_cndmask_b32_e64 v62, v216, v62, s[98:99]                 // 000000014DEC: D100003E 018A7DD8
	v_add_u32_e32 v197, 0x83, v196                             // 000000014DF4: 698B88FF 00000083
	v_cmp_lt_u32_e64 s[98:99], v197, v214                      // 000000014DFC: D0C90062 0003ADC5
	s_nop 0                                                    // 000000014E04: BF800000
	v_cndmask_b32_e64 v63, v216, v63, s[98:99]                 // 000000014E08: D100003F 018A7FD8
	v_add_u32_e32 v197, 0xc0, v196                             // 000000014E10: 698B88FF 000000C0
	v_cmp_lt_u32_e64 s[98:99], v197, v214                      // 000000014E18: D0C90062 0003ADC5
	s_nop 0                                                    // 000000014E20: BF800000
	v_cndmask_b32_e64 v64, v216, v64, s[98:99]                 // 000000014E24: D1000040 018A81D8
	v_add_u32_e32 v197, 0xc1, v196                             // 000000014E2C: 698B88FF 000000C1
	v_cmp_lt_u32_e64 s[98:99], v197, v214                      // 000000014E34: D0C90062 0003ADC5
	s_nop 0                                                    // 000000014E3C: BF800000
	v_cndmask_b32_e64 v65, v216, v65, s[98:99]                 // 000000014E40: D1000041 018A83D8
	v_add_u32_e32 v197, 0xc2, v196                             // 000000014E48: 698B88FF 000000C2
	v_cmp_lt_u32_e64 s[98:99], v197, v214                      // 000000014E50: D0C90062 0003ADC5
	s_nop 0                                                    // 000000014E58: BF800000
	v_cndmask_b32_e64 v66, v216, v66, s[98:99]                 // 000000014E5C: D1000042 018A85D8
	v_add_u32_e32 v197, 0xc3, v196                             // 000000014E64: 698B88FF 000000C3
	v_cmp_lt_u32_e64 s[98:99], v197, v214                      // 000000014E6C: D0C90062 0003ADC5
	s_nop 0                                                    // 000000014E74: BF800000
	v_cndmask_b32_e64 v67, v216, v67, s[98:99]                 // 000000014E78: D1000043 018A87D8
	v_mov_b32_e32 v176, v4                                     // 000000014E80: 7F600304
	v_max3_f32 v176, v4, v5, v176                              // 000000014E84: D1D300B0 06C20B04
	v_max3_f32 v176, v6, v7, v176                              // 000000014E8C: D1D300B0 06C20F06
	v_max3_f32 v176, v8, v9, v176                              // 000000014E94: D1D300B0 06C21308
	v_max3_f32 v176, v10, v11, v176                            // 000000014E9C: D1D300B0 06C2170A
	v_max3_f32 v176, v12, v13, v176                            // 000000014EA4: D1D300B0 06C21B0C
	v_max3_f32 v176, v14, v15, v176                            // 000000014EAC: D1D300B0 06C21F0E
	v_max3_f32 v176, v16, v17, v176                            // 000000014EB4: D1D300B0 06C22310
	v_max3_f32 v176, v18, v19, v176                            // 000000014EBC: D1D300B0 06C22712
	v_mov_b32_e32 v177, v20                                    // 000000014EC4: 7F620314
	v_max3_f32 v177, v20, v21, v177                            // 000000014EC8: D1D300B1 06C62B14
	v_max3_f32 v177, v22, v23, v177                            // 000000014ED0: D1D300B1 06C62F16
	v_max3_f32 v177, v24, v25, v177                            // 000000014ED8: D1D300B1 06C63318
	v_max3_f32 v177, v26, v27, v177                            // 000000014EE0: D1D300B1 06C6371A
	v_max3_f32 v177, v28, v29, v177                            // 000000014EE8: D1D300B1 06C63B1C
	v_max3_f32 v177, v30, v31, v177                            // 000000014EF0: D1D300B1 06C63F1E
	v_max3_f32 v177, v32, v33, v177                            // 000000014EF8: D1D300B1 06C64320
	v_max3_f32 v177, v34, v35, v177                            // 000000014F00: D1D300B1 06C64722
	v_mov_b32_e32 v178, v36                                    // 000000014F08: 7F640324
	v_max3_f32 v178, v36, v37, v178                            // 000000014F0C: D1D300B2 06CA4B24
	v_max3_f32 v178, v38, v39, v178                            // 000000014F14: D1D300B2 06CA4F26
	v_max3_f32 v178, v40, v41, v178                            // 000000014F1C: D1D300B2 06CA5328
	v_max3_f32 v178, v42, v43, v178                            // 000000014F24: D1D300B2 06CA572A
	v_max3_f32 v178, v44, v45, v178                            // 000000014F2C: D1D300B2 06CA5B2C
	v_max3_f32 v178, v46, v47, v178                            // 000000014F34: D1D300B2 06CA5F2E
	v_max3_f32 v178, v48, v49, v178                            // 000000014F3C: D1D300B2 06CA6330
	v_max3_f32 v178, v50, v51, v178                            // 000000014F44: D1D300B2 06CA6732
	v_mov_b32_e32 v179, v52                                    // 000000014F4C: 7F660334
	v_max3_f32 v179, v52, v53, v179                            // 000000014F50: D1D300B3 06CE6B34
	v_max3_f32 v179, v54, v55, v179                            // 000000014F58: D1D300B3 06CE6F36
	v_max3_f32 v179, v56, v57, v179                            // 000000014F60: D1D300B3 06CE7338
	v_max3_f32 v179, v58, v59, v179                            // 000000014F68: D1D300B3 06CE773A
	v_max3_f32 v179, v60, v61, v179                            // 000000014F70: D1D300B3 06CE7B3C
	v_max3_f32 v179, v62, v63, v179                            // 000000014F78: D1D300B3 06CE7F3E
	v_max3_f32 v179, v64, v65, v179                            // 000000014F80: D1D300B3 06CE8340
	v_max3_f32 v179, v66, v67, v179                            // 000000014F88: D1D300B3 06CE8742
	ds_bpermute_b32 v180, v200, v176                           // 000000014F90: D87E0000 B400B0C8
	ds_bpermute_b32 v181, v201, v176                           // 000000014F98: D87E0000 B500B0C9
	ds_bpermute_b32 v182, v202, v176                           // 000000014FA0: D87E0000 B600B0CA
	ds_bpermute_b32 v183, v200, v177                           // 000000014FA8: D87E0000 B700B1C8
	ds_bpermute_b32 v184, v201, v177                           // 000000014FB0: D87E0000 B800B1C9
	ds_bpermute_b32 v185, v202, v177                           // 000000014FB8: D87E0000 B900B1CA
	ds_bpermute_b32 v186, v200, v178                           // 000000014FC0: D87E0000 BA00B2C8
	ds_bpermute_b32 v187, v201, v178                           // 000000014FC8: D87E0000 BB00B2C9
	ds_bpermute_b32 v188, v202, v178                           // 000000014FD0: D87E0000 BC00B2CA
	ds_bpermute_b32 v189, v200, v179                           // 000000014FD8: D87E0000 BD00B3C8
	ds_bpermute_b32 v190, v201, v179                           // 000000014FE0: D87E0000 BE00B3C9
	ds_bpermute_b32 v191, v202, v179                           // 000000014FE8: D87E0000 BF00B3CA
	v_pk_mul_f32 v[100:101], v[160:161], v[100:101]            // 000000014FF0: D3B14064 1802C9A0
	v_pk_mul_f32 v[102:103], v[160:161], v[102:103]            // 000000014FF8: D3B14066 1802CDA0
	v_pk_mul_f32 v[104:105], v[160:161], v[104:105]            // 000000015000: D3B14068 1802D1A0
	v_pk_mul_f32 v[106:107], v[160:161], v[106:107]            // 000000015008: D3B1406A 1802D5A0
	v_pk_mul_f32 v[108:109], v[162:163], v[108:109]            // 000000015010: D3B1406C 1802D9A2
	v_pk_mul_f32 v[110:111], v[162:163], v[110:111]            // 000000015018: D3B1406E 1802DDA2
	v_pk_mul_f32 v[112:113], v[162:163], v[112:113]            // 000000015020: D3B14070 1802E1A2
	v_pk_mul_f32 v[114:115], v[162:163], v[114:115]            // 000000015028: D3B14072 1802E5A2
	v_pk_mul_f32 v[116:117], v[164:165], v[116:117]            // 000000015030: D3B14074 1802E9A4
	v_pk_mul_f32 v[118:119], v[164:165], v[118:119]            // 000000015038: D3B14076 1802EDA4
	v_pk_mul_f32 v[120:121], v[164:165], v[120:121]            // 000000015040: D3B14078 1802F1A4
	v_pk_mul_f32 v[122:123], v[164:165], v[122:123]            // 000000015048: D3B1407A 1802F5A4
	v_pk_mul_f32 v[124:125], v[166:167], v[124:125]            // 000000015050: D3B1407C 1802F9A6
	v_pk_mul_f32 v[126:127], v[166:167], v[126:127]            // 000000015058: D3B1407E 1802FDA6
	v_pk_mul_f32 v[128:129], v[166:167], v[128:129]            // 000000015060: D3B14080 180301A6
	v_pk_mul_f32 v[130:131], v[166:167], v[130:131]            // 000000015068: D3B14082 180305A6
	s_waitcnt lgkmcnt(9)                                       // 000000015070: BF8CC97F
	v_max3_f32 v176, v180, v181, v176                          // 000000015074: D1D300B0 06C36BB4
	v_max_f32_e32 v176, v182, v176                             // 00000001507C: 176161B6
	s_waitcnt lgkmcnt(6)                                       // 000000015080: BF8CC67F
	v_max3_f32 v177, v183, v184, v177                          // 000000015084: D1D300B1 06C771B7
	v_max_f32_e32 v177, v185, v177                             // 00000001508C: 176363B9
	s_waitcnt lgkmcnt(3)                                       // 000000015090: BF8CC37F
	v_max3_f32 v178, v186, v187, v178                          // 000000015094: D1D300B2 06CB77BA
	v_max_f32_e32 v178, v188, v178                             // 00000001509C: 176565BC
	s_waitcnt lgkmcnt(0)                                       // 0000000150A0: BF8CC07F
	v_max3_f32 v179, v189, v190, v179                          // 0000000150A4: D1D300B3 06CF7DBD
	v_max_f32_e32 v179, v191, v179                             // 0000000150AC: 176767BF
	ds_write_b128 v247, v[176:179]                             // 0000000150B0: D9BE0000 0000B0F7
	s_waitcnt lgkmcnt(0)                                       // 0000000150B8: BF8CC07F
	s_barrier                                                  // 0000000150BC: BF8A0000
	ds_read_b128 v[180:183], v248                              // 0000000150C0: D9FE0000 B40000F8
	ds_read_b128 v[184:187], v248 offset:256                   // 0000000150C8: D9FE0100 B80000F8
	ds_read_b128 v[188:191], v248 offset:512                   // 0000000150D0: D9FE0200 BC0000F8
	ds_read_b128 v[192:195], v248 offset:768                   // 0000000150D8: D9FE0300 C00000F8
	v_pk_mul_f32 v[68:69], v[144:145], v[68:69]                // 0000000150E0: D3B14044 18028990
	v_pk_mul_f32 v[70:71], v[144:145], v[70:71]                // 0000000150E8: D3B14046 18028D90
	v_pk_mul_f32 v[72:73], v[144:145], v[72:73]                // 0000000150F0: D3B14048 18029190
	v_pk_mul_f32 v[74:75], v[144:145], v[74:75]                // 0000000150F8: D3B1404A 18029590
	v_pk_mul_f32 v[76:77], v[146:147], v[76:77]                // 000000015100: D3B1404C 18029992
	v_pk_mul_f32 v[78:79], v[146:147], v[78:79]                // 000000015108: D3B1404E 18029D92
	v_pk_mul_f32 v[80:81], v[146:147], v[80:81]                // 000000015110: D3B14050 1802A192
	v_pk_mul_f32 v[82:83], v[146:147], v[82:83]                // 000000015118: D3B14052 1802A592
	v_pk_mul_f32 v[84:85], v[148:149], v[84:85]                // 000000015120: D3B14054 1802A994
	v_pk_mul_f32 v[86:87], v[148:149], v[86:87]                // 000000015128: D3B14056 1802AD94
	v_pk_mul_f32 v[88:89], v[148:149], v[88:89]                // 000000015130: D3B14058 1802B194
	v_pk_mul_f32 v[90:91], v[148:149], v[90:91]                // 000000015138: D3B1405A 1802B594
	v_pk_mul_f32 v[92:93], v[150:151], v[92:93]                // 000000015140: D3B1405C 1802B996
	v_pk_mul_f32 v[94:95], v[150:151], v[94:95]                // 000000015148: D3B1405E 1802BD96
	v_pk_mul_f32 v[96:97], v[150:151], v[96:97]                // 000000015150: D3B14060 1802C196
	v_pk_mul_f32 v[98:99], v[150:151], v[98:99]                // 000000015158: D3B14062 1802C596
	s_waitcnt lgkmcnt(0)                                       // 000000015160: BF8CC07F
	v_max3_f32 v176, v180, v184, v176                          // 000000015164: D1D300B0 06C371B4
	v_max3_f32 v177, v181, v185, v177                          // 00000001516C: D1D300B1 06C773B5
	v_max3_f32 v178, v182, v186, v178                          // 000000015174: D1D300B2 06CB75B6
	v_max3_f32 v179, v183, v187, v179                          // 00000001517C: D1D300B3 06CF77B7
	v_max3_f32 v176, v188, v192, v176                          // 000000015184: D1D300B0 06C381BC
	v_max3_f32 v177, v189, v193, v177                          // 00000001518C: D1D300B1 06C783BD
	v_max3_f32 v178, v190, v194, v178                          // 000000015194: D1D300B2 06CB85BE
	v_max3_f32 v179, v191, v195, v179                          // 00000001519C: D1D300B3 06CF87BF
	v_max_f32_e32 v156, v176, v152                             // 0000000151A4: 173931B0
	v_mul_f32_e64 v196, -s46, v156                             // 0000000151A8: D10500C4 2003382E
	v_mov_b32_e32 v197, v196                                   // 0000000151B0: 7F8A03C4
	v_pk_fma_f32 v[4:5], v[4:5], s[46:47], v[196:197]          // 0000000151B4: D3B04004 1F105D04
	v_pk_fma_f32 v[6:7], v[6:7], s[46:47], v[196:197]          // 0000000151BC: D3B04006 1F105D06
	v_exp_f32_e32 v4, v4                                       // 0000000151C4: 7E084104
	v_exp_f32_e32 v5, v5                                       // 0000000151C8: 7E0A4105
	v_exp_f32_e32 v6, v6                                       // 0000000151CC: 7E0C4106
	v_exp_f32_e32 v7, v7                                       // 0000000151D0: 7E0E4107
	v_pk_fma_f32 v[8:9], v[8:9], s[46:47], v[196:197]          // 0000000151D4: D3B04008 1F105D08
	v_pk_fma_f32 v[10:11], v[10:11], s[46:47], v[196:197]      // 0000000151DC: D3B0400A 1F105D0A
	v_exp_f32_e32 v8, v8                                       // 0000000151E4: 7E104108
	v_exp_f32_e32 v9, v9                                       // 0000000151E8: 7E124109
	v_exp_f32_e32 v10, v10                                     // 0000000151EC: 7E14410A
	v_exp_f32_e32 v11, v11                                     // 0000000151F0: 7E16410B
	v_pk_fma_f32 v[12:13], v[12:13], s[46:47], v[196:197]      // 0000000151F4: D3B0400C 1F105D0C
	v_pk_fma_f32 v[14:15], v[14:15], s[46:47], v[196:197]      // 0000000151FC: D3B0400E 1F105D0E
	v_exp_f32_e32 v12, v12                                     // 000000015204: 7E18410C
	v_exp_f32_e32 v13, v13                                     // 000000015208: 7E1A410D
	v_exp_f32_e32 v14, v14                                     // 00000001520C: 7E1C410E
	v_exp_f32_e32 v15, v15                                     // 000000015210: 7E1E410F
	v_pk_fma_f32 v[16:17], v[16:17], s[46:47], v[196:197]      // 000000015214: D3B04010 1F105D10
	v_pk_fma_f32 v[18:19], v[18:19], s[46:47], v[196:197]      // 00000001521C: D3B04012 1F105D12
	v_exp_f32_e32 v16, v16                                     // 000000015224: 7E204110
	v_exp_f32_e32 v17, v17                                     // 000000015228: 7E224111
	v_exp_f32_e32 v18, v18                                     // 00000001522C: 7E244112
	v_exp_f32_e32 v19, v19                                     // 000000015230: 7E264113
	v_max_f32_e32 v157, v177, v153                             // 000000015234: 173B33B1
	v_mul_f32_e64 v196, -s46, v157                             // 000000015238: D10500C4 20033A2E
	v_mov_b32_e32 v197, v196                                   // 000000015240: 7F8A03C4
	v_pk_fma_f32 v[20:21], v[20:21], s[46:47], v[196:197]      // 000000015244: D3B04014 1F105D14
	v_pk_fma_f32 v[22:23], v[22:23], s[46:47], v[196:197]      // 00000001524C: D3B04016 1F105D16
	v_exp_f32_e32 v20, v20                                     // 000000015254: 7E284114
	v_exp_f32_e32 v21, v21                                     // 000000015258: 7E2A4115
	v_exp_f32_e32 v22, v22                                     // 00000001525C: 7E2C4116
	v_exp_f32_e32 v23, v23                                     // 000000015260: 7E2E4117
	v_pk_fma_f32 v[24:25], v[24:25], s[46:47], v[196:197]      // 000000015264: D3B04018 1F105D18
	v_pk_fma_f32 v[26:27], v[26:27], s[46:47], v[196:197]      // 00000001526C: D3B0401A 1F105D1A
	v_exp_f32_e32 v24, v24                                     // 000000015274: 7E304118
	v_exp_f32_e32 v25, v25                                     // 000000015278: 7E324119
	v_exp_f32_e32 v26, v26                                     // 00000001527C: 7E34411A
	v_exp_f32_e32 v27, v27                                     // 000000015280: 7E36411B
	v_pk_fma_f32 v[28:29], v[28:29], s[46:47], v[196:197]      // 000000015284: D3B0401C 1F105D1C
	v_pk_fma_f32 v[30:31], v[30:31], s[46:47], v[196:197]      // 00000001528C: D3B0401E 1F105D1E
	v_exp_f32_e32 v28, v28                                     // 000000015294: 7E38411C
	v_exp_f32_e32 v29, v29                                     // 000000015298: 7E3A411D
	v_exp_f32_e32 v30, v30                                     // 00000001529C: 7E3C411E
	v_exp_f32_e32 v31, v31                                     // 0000000152A0: 7E3E411F
	v_pk_fma_f32 v[32:33], v[32:33], s[46:47], v[196:197]      // 0000000152A4: D3B04020 1F105D20
	v_pk_fma_f32 v[34:35], v[34:35], s[46:47], v[196:197]      // 0000000152AC: D3B04022 1F105D22
	v_exp_f32_e32 v32, v32                                     // 0000000152B4: 7E404120
	v_exp_f32_e32 v33, v33                                     // 0000000152B8: 7E424121
	v_exp_f32_e32 v34, v34                                     // 0000000152BC: 7E444122
	v_exp_f32_e32 v35, v35                                     // 0000000152C0: 7E464123
	v_max_f32_e32 v158, v178, v154                             // 0000000152C4: 173D35B2
	v_mul_f32_e64 v196, -s46, v158                             // 0000000152C8: D10500C4 20033C2E
	v_mov_b32_e32 v197, v196                                   // 0000000152D0: 7F8A03C4
	v_pk_fma_f32 v[36:37], v[36:37], s[46:47], v[196:197]      // 0000000152D4: D3B04024 1F105D24
	v_pk_fma_f32 v[38:39], v[38:39], s[46:47], v[196:197]      // 0000000152DC: D3B04026 1F105D26
	v_exp_f32_e32 v36, v36                                     // 0000000152E4: 7E484124
	v_exp_f32_e32 v37, v37                                     // 0000000152E8: 7E4A4125
	v_exp_f32_e32 v38, v38                                     // 0000000152EC: 7E4C4126
	v_exp_f32_e32 v39, v39                                     // 0000000152F0: 7E4E4127
	v_pk_fma_f32 v[40:41], v[40:41], s[46:47], v[196:197]      // 0000000152F4: D3B04028 1F105D28
	v_pk_fma_f32 v[42:43], v[42:43], s[46:47], v[196:197]      // 0000000152FC: D3B0402A 1F105D2A
	v_exp_f32_e32 v40, v40                                     // 000000015304: 7E504128
	v_exp_f32_e32 v41, v41                                     // 000000015308: 7E524129
	v_exp_f32_e32 v42, v42                                     // 00000001530C: 7E54412A
	v_exp_f32_e32 v43, v43                                     // 000000015310: 7E56412B
	v_pk_fma_f32 v[44:45], v[44:45], s[46:47], v[196:197]      // 000000015314: D3B0402C 1F105D2C
	v_pk_fma_f32 v[46:47], v[46:47], s[46:47], v[196:197]      // 00000001531C: D3B0402E 1F105D2E
	v_exp_f32_e32 v44, v44                                     // 000000015324: 7E58412C
	v_exp_f32_e32 v45, v45                                     // 000000015328: 7E5A412D
	v_exp_f32_e32 v46, v46                                     // 00000001532C: 7E5C412E
	v_exp_f32_e32 v47, v47                                     // 000000015330: 7E5E412F
	v_pk_fma_f32 v[48:49], v[48:49], s[46:47], v[196:197]      // 000000015334: D3B04030 1F105D30
	v_pk_fma_f32 v[50:51], v[50:51], s[46:47], v[196:197]      // 00000001533C: D3B04032 1F105D32
	v_exp_f32_e32 v48, v48                                     // 000000015344: 7E604130
	v_exp_f32_e32 v49, v49                                     // 000000015348: 7E624131
	v_exp_f32_e32 v50, v50                                     // 00000001534C: 7E644132
	v_exp_f32_e32 v51, v51                                     // 000000015350: 7E664133
	v_max_f32_e32 v159, v179, v155                             // 000000015354: 173F37B3
	v_mul_f32_e64 v196, -s46, v159                             // 000000015358: D10500C4 20033E2E
	v_mov_b32_e32 v197, v196                                   // 000000015360: 7F8A03C4
	v_pk_fma_f32 v[52:53], v[52:53], s[46:47], v[196:197]      // 000000015364: D3B04034 1F105D34
	v_pk_fma_f32 v[54:55], v[54:55], s[46:47], v[196:197]      // 00000001536C: D3B04036 1F105D36
	v_exp_f32_e32 v52, v52                                     // 000000015374: 7E684134
	v_exp_f32_e32 v53, v53                                     // 000000015378: 7E6A4135
	v_exp_f32_e32 v54, v54                                     // 00000001537C: 7E6C4136
	v_exp_f32_e32 v55, v55                                     // 000000015380: 7E6E4137
	v_pk_fma_f32 v[56:57], v[56:57], s[46:47], v[196:197]      // 000000015384: D3B04038 1F105D38
	v_pk_fma_f32 v[58:59], v[58:59], s[46:47], v[196:197]      // 00000001538C: D3B0403A 1F105D3A
	v_exp_f32_e32 v56, v56                                     // 000000015394: 7E704138
	v_exp_f32_e32 v57, v57                                     // 000000015398: 7E724139
	v_exp_f32_e32 v58, v58                                     // 00000001539C: 7E74413A
	v_exp_f32_e32 v59, v59                                     // 0000000153A0: 7E76413B
	v_pk_fma_f32 v[60:61], v[60:61], s[46:47], v[196:197]      // 0000000153A4: D3B0403C 1F105D3C
	v_pk_fma_f32 v[62:63], v[62:63], s[46:47], v[196:197]      // 0000000153AC: D3B0403E 1F105D3E
	v_exp_f32_e32 v60, v60                                     // 0000000153B4: 7E78413C
	v_exp_f32_e32 v61, v61                                     // 0000000153B8: 7E7A413D
	v_exp_f32_e32 v62, v62                                     // 0000000153BC: 7E7C413E
	v_exp_f32_e32 v63, v63                                     // 0000000153C0: 7E7E413F
	v_pk_fma_f32 v[64:65], v[64:65], s[46:47], v[196:197]      // 0000000153C4: D3B04040 1F105D40
	v_pk_fma_f32 v[66:67], v[66:67], s[46:47], v[196:197]      // 0000000153CC: D3B04042 1F105D42
	v_exp_f32_e32 v64, v64                                     // 0000000153D4: 7E804140
	v_exp_f32_e32 v65, v65                                     // 0000000153D8: 7E824141
	v_exp_f32_e32 v66, v66                                     // 0000000153DC: 7E844142
	v_exp_f32_e32 v67, v67                                     // 0000000153E0: 7E864143
	v_sub_f32_e32 v160, v152, v156                             // 0000000153E4: 05413998
	v_cmp_eq_u32_e64 s[98:99], v216, v152                      // 0000000153E8: D0CA0062 000331D8
	v_cndmask_b32_e64 v160, v160, 0, s[98:99]                  // 0000000153F0: D10000A0 018901A0
	v_mov_b32_e32 v152, v156                                   // 0000000153F8: 7F30039C
	v_mul_f32_e32 v160, s46, v160                              // 0000000153FC: 0B41402E
	v_exp_f32_e32 v160, v160                                   // 000000015400: 7F4041A0
	v_sub_f32_e32 v162, v153, v157                             // 000000015404: 05453B99
	v_cmp_eq_u32_e64 s[98:99], v216, v153                      // 000000015408: D0CA0062 000333D8
	v_cndmask_b32_e64 v162, v162, 0, s[98:99]                  // 000000015410: D10000A2 018901A2
	v_mov_b32_e32 v153, v157                                   // 000000015418: 7F32039D
	v_mul_f32_e32 v162, s46, v162                              // 00000001541C: 0B45442E
	v_exp_f32_e32 v162, v162                                   // 000000015420: 7F4441A2
	v_sub_f32_e32 v164, v154, v158                             // 000000015424: 05493D9A
	v_cmp_eq_u32_e64 s[98:99], v216, v154                      // 000000015428: D0CA0062 000335D8
	v_cndmask_b32_e64 v164, v164, 0, s[98:99]                  // 000000015430: D10000A4 018901A4
	v_mov_b32_e32 v154, v158                                   // 000000015438: 7F34039E
	v_mul_f32_e32 v164, s46, v164                              // 00000001543C: 0B49482E
	v_exp_f32_e32 v164, v164                                   // 000000015440: 7F4841A4
	v_sub_f32_e32 v166, v155, v159                             // 000000015444: 054D3F9B
	v_cmp_eq_u32_e64 s[98:99], v216, v155                      // 000000015448: D0CA0062 000337D8
	v_cndmask_b32_e64 v166, v166, 0, s[98:99]                  // 000000015450: D10000A6 018901A6
	v_mov_b32_e32 v155, v159                                   // 000000015458: 7F36039F
	v_mul_f32_e32 v166, s46, v166                              // 00000001545C: 0B4D4C2E
	v_exp_f32_e32 v166, v166                                   // 000000015460: 7F4C41A6
	v_mov_b32_e32 v161, v160                                   // 000000015464: 7F4203A0
	v_mov_b32_e32 v163, v162                                   // 000000015468: 7F4603A2
	v_mov_b32_e32 v165, v164                                   // 00000001546C: 7F4A03A4
	v_mov_b32_e32 v167, v166                                   // 000000015470: 7F4E03A6
	v_mul_f32_e32 v168, v160, v168                             // 000000015474: 0B5151A0
	v_mov_b32_e32 v169, 0                                      // 000000015478: 7F520280
	v_pk_add_f32 v[168:169], v[4:5], v[168:169]                // 00000001547C: D3B240A8 18035104
	v_pk_add_f32 v[168:169], v[6:7], v[168:169]                // 000000015484: D3B240A8 18035106
	v_pk_add_f32 v[168:169], v[8:9], v[168:169]                // 00000001548C: D3B240A8 18035108
	v_pk_add_f32 v[168:169], v[10:11], v[168:169]              // 000000015494: D3B240A8 1803510A
	v_pk_add_f32 v[168:169], v[12:13], v[168:169]              // 00000001549C: D3B240A8 1803510C
	v_pk_add_f32 v[168:169], v[14:15], v[168:169]              // 0000000154A4: D3B240A8 1803510E
	v_pk_add_f32 v[168:169], v[16:17], v[168:169]              // 0000000154AC: D3B240A8 18035110
	v_pk_add_f32 v[168:169], v[18:19], v[168:169]              // 0000000154B4: D3B240A8 18035112
	v_add_f32_e32 v168, v169, v168                             // 0000000154BC: 035151A9
	v_mul_f32_e32 v170, v162, v170                             // 0000000154C0: 0B5555A2
	v_mov_b32_e32 v171, 0                                      // 0000000154C4: 7F560280
	v_pk_add_f32 v[170:171], v[20:21], v[170:171]              // 0000000154C8: D3B240AA 18035514
	v_pk_add_f32 v[170:171], v[22:23], v[170:171]              // 0000000154D0: D3B240AA 18035516
	v_pk_add_f32 v[170:171], v[24:25], v[170:171]              // 0000000154D8: D3B240AA 18035518
	v_pk_add_f32 v[170:171], v[26:27], v[170:171]              // 0000000154E0: D3B240AA 1803551A
	v_pk_add_f32 v[170:171], v[28:29], v[170:171]              // 0000000154E8: D3B240AA 1803551C
	v_pk_add_f32 v[170:171], v[30:31], v[170:171]              // 0000000154F0: D3B240AA 1803551E
	v_pk_add_f32 v[170:171], v[32:33], v[170:171]              // 0000000154F8: D3B240AA 18035520
	v_pk_add_f32 v[170:171], v[34:35], v[170:171]              // 000000015500: D3B240AA 18035522
	v_add_f32_e32 v170, v171, v170                             // 000000015508: 035555AB
	v_mul_f32_e32 v172, v164, v172                             // 00000001550C: 0B5959A4
	v_mov_b32_e32 v173, 0                                      // 000000015510: 7F5A0280
	v_pk_add_f32 v[172:173], v[36:37], v[172:173]              // 000000015514: D3B240AC 18035924
	v_pk_add_f32 v[172:173], v[38:39], v[172:173]              // 00000001551C: D3B240AC 18035926
	v_pk_add_f32 v[172:173], v[40:41], v[172:173]              // 000000015524: D3B240AC 18035928
	v_pk_add_f32 v[172:173], v[42:43], v[172:173]              // 00000001552C: D3B240AC 1803592A
	v_pk_add_f32 v[172:173], v[44:45], v[172:173]              // 000000015534: D3B240AC 1803592C
	v_pk_add_f32 v[172:173], v[46:47], v[172:173]              // 00000001553C: D3B240AC 1803592E
	v_pk_add_f32 v[172:173], v[48:49], v[172:173]              // 000000015544: D3B240AC 18035930
	v_pk_add_f32 v[172:173], v[50:51], v[172:173]              // 00000001554C: D3B240AC 18035932
	v_add_f32_e32 v172, v173, v172                             // 000000015554: 035959AD
	v_mul_f32_e32 v174, v166, v174                             // 000000015558: 0B5D5DA6
	v_mov_b32_e32 v175, 0                                      // 00000001555C: 7F5E0280
	v_pk_add_f32 v[174:175], v[52:53], v[174:175]              // 000000015560: D3B240AE 18035D34
	v_pk_add_f32 v[174:175], v[54:55], v[174:175]              // 000000015568: D3B240AE 18035D36
	v_pk_add_f32 v[174:175], v[56:57], v[174:175]              // 000000015570: D3B240AE 18035D38
	v_pk_add_f32 v[174:175], v[58:59], v[174:175]              // 000000015578: D3B240AE 18035D3A
	v_pk_add_f32 v[174:175], v[60:61], v[174:175]              // 000000015580: D3B240AE 18035D3C
	v_pk_add_f32 v[174:175], v[62:63], v[174:175]              // 000000015588: D3B240AE 18035D3E
	v_pk_add_f32 v[174:175], v[64:65], v[174:175]              // 000000015590: D3B240AE 18035D40
	v_pk_add_f32 v[174:175], v[66:67], v[174:175]              // 000000015598: D3B240AE 18035D42
	v_add_f32_e32 v174, v175, v174                             // 0000000155A0: 035D5DAF
	v_mul_f32_dpp v4, v142, v4 row_newbcast:0 row_mask:0xf bank_mask:0xf// 0000000155A4: 0A0808FA FF01508E
	v_mul_f32_dpp v5, v142, v5 row_newbcast:1 row_mask:0xf bank_mask:0xf// 0000000155AC: 0A0A0AFA FF01518E
	v_mul_f32_dpp v6, v142, v6 row_newbcast:2 row_mask:0xf bank_mask:0xf// 0000000155B4: 0A0C0CFA FF01528E
	v_mul_f32_dpp v7, v142, v7 row_newbcast:3 row_mask:0xf bank_mask:0xf// 0000000155BC: 0A0E0EFA FF01538E
	v_mul_f32_dpp v8, v142, v8 row_newbcast:4 row_mask:0xf bank_mask:0xf// 0000000155C4: 0A1010FA FF01548E
	v_mul_f32_dpp v9, v142, v9 row_newbcast:5 row_mask:0xf bank_mask:0xf// 0000000155CC: 0A1212FA FF01558E
	v_mul_f32_dpp v10, v142, v10 row_newbcast:6 row_mask:0xf bank_mask:0xf// 0000000155D4: 0A1414FA FF01568E
	v_mul_f32_dpp v11, v142, v11 row_newbcast:7 row_mask:0xf bank_mask:0xf// 0000000155DC: 0A1616FA FF01578E
	v_mul_f32_dpp v12, v142, v12 row_newbcast:8 row_mask:0xf bank_mask:0xf// 0000000155E4: 0A1818FA FF01588E
	v_mul_f32_dpp v13, v142, v13 row_newbcast:9 row_mask:0xf bank_mask:0xf// 0000000155EC: 0A1A1AFA FF01598E
	v_mul_f32_dpp v14, v142, v14 row_newbcast:10 row_mask:0xf bank_mask:0xf// 0000000155F4: 0A1C1CFA FF015A8E
	v_mul_f32_dpp v15, v142, v15 row_newbcast:11 row_mask:0xf bank_mask:0xf// 0000000155FC: 0A1E1EFA FF015B8E
	v_mul_f32_dpp v16, v142, v16 row_newbcast:12 row_mask:0xf bank_mask:0xf// 000000015604: 0A2020FA FF015C8E
	v_mul_f32_dpp v17, v142, v17 row_newbcast:13 row_mask:0xf bank_mask:0xf// 00000001560C: 0A2222FA FF015D8E
	v_mul_f32_dpp v18, v142, v18 row_newbcast:14 row_mask:0xf bank_mask:0xf// 000000015614: 0A2424FA FF015E8E
	v_mul_f32_dpp v19, v142, v19 row_newbcast:15 row_mask:0xf bank_mask:0xf// 00000001561C: 0A2626FA FF015F8E
	v_mul_f32_dpp v20, v142, v20 row_newbcast:0 row_mask:0xf bank_mask:0xf// 000000015624: 0A2828FA FF01508E
	v_mul_f32_dpp v21, v142, v21 row_newbcast:1 row_mask:0xf bank_mask:0xf// 00000001562C: 0A2A2AFA FF01518E
	v_mul_f32_dpp v22, v142, v22 row_newbcast:2 row_mask:0xf bank_mask:0xf// 000000015634: 0A2C2CFA FF01528E
	v_mul_f32_dpp v23, v142, v23 row_newbcast:3 row_mask:0xf bank_mask:0xf// 00000001563C: 0A2E2EFA FF01538E
	v_mul_f32_dpp v24, v142, v24 row_newbcast:4 row_mask:0xf bank_mask:0xf// 000000015644: 0A3030FA FF01548E
	v_mul_f32_dpp v25, v142, v25 row_newbcast:5 row_mask:0xf bank_mask:0xf// 00000001564C: 0A3232FA FF01558E
	v_mul_f32_dpp v26, v142, v26 row_newbcast:6 row_mask:0xf bank_mask:0xf// 000000015654: 0A3434FA FF01568E
	v_mul_f32_dpp v27, v142, v27 row_newbcast:7 row_mask:0xf bank_mask:0xf// 00000001565C: 0A3636FA FF01578E
	v_mul_f32_dpp v28, v142, v28 row_newbcast:8 row_mask:0xf bank_mask:0xf// 000000015664: 0A3838FA FF01588E
	v_mul_f32_dpp v29, v142, v29 row_newbcast:9 row_mask:0xf bank_mask:0xf// 00000001566C: 0A3A3AFA FF01598E
	v_mul_f32_dpp v30, v142, v30 row_newbcast:10 row_mask:0xf bank_mask:0xf// 000000015674: 0A3C3CFA FF015A8E
	v_mul_f32_dpp v31, v142, v31 row_newbcast:11 row_mask:0xf bank_mask:0xf// 00000001567C: 0A3E3EFA FF015B8E
	v_mul_f32_dpp v32, v142, v32 row_newbcast:12 row_mask:0xf bank_mask:0xf// 000000015684: 0A4040FA FF015C8E
	v_mul_f32_dpp v33, v142, v33 row_newbcast:13 row_mask:0xf bank_mask:0xf// 00000001568C: 0A4242FA FF015D8E
	v_mul_f32_dpp v34, v142, v34 row_newbcast:14 row_mask:0xf bank_mask:0xf// 000000015694: 0A4444FA FF015E8E
	v_mul_f32_dpp v35, v142, v35 row_newbcast:15 row_mask:0xf bank_mask:0xf// 00000001569C: 0A4646FA FF015F8E
	v_mul_f32_dpp v36, v142, v36 row_newbcast:0 row_mask:0xf bank_mask:0xf// 0000000156A4: 0A4848FA FF01508E
	v_mul_f32_dpp v37, v142, v37 row_newbcast:1 row_mask:0xf bank_mask:0xf// 0000000156AC: 0A4A4AFA FF01518E
	v_mul_f32_dpp v38, v142, v38 row_newbcast:2 row_mask:0xf bank_mask:0xf// 0000000156B4: 0A4C4CFA FF01528E
	v_mul_f32_dpp v39, v142, v39 row_newbcast:3 row_mask:0xf bank_mask:0xf// 0000000156BC: 0A4E4EFA FF01538E
	v_mul_f32_dpp v40, v142, v40 row_newbcast:4 row_mask:0xf bank_mask:0xf// 0000000156C4: 0A5050FA FF01548E
	v_mul_f32_dpp v41, v142, v41 row_newbcast:5 row_mask:0xf bank_mask:0xf// 0000000156CC: 0A5252FA FF01558E
	v_mul_f32_dpp v42, v142, v42 row_newbcast:6 row_mask:0xf bank_mask:0xf// 0000000156D4: 0A5454FA FF01568E
	v_mul_f32_dpp v43, v142, v43 row_newbcast:7 row_mask:0xf bank_mask:0xf// 0000000156DC: 0A5656FA FF01578E
	v_mul_f32_dpp v44, v142, v44 row_newbcast:8 row_mask:0xf bank_mask:0xf// 0000000156E4: 0A5858FA FF01588E
	v_mul_f32_dpp v45, v142, v45 row_newbcast:9 row_mask:0xf bank_mask:0xf// 0000000156EC: 0A5A5AFA FF01598E
	v_mul_f32_dpp v46, v142, v46 row_newbcast:10 row_mask:0xf bank_mask:0xf// 0000000156F4: 0A5C5CFA FF015A8E
	v_mul_f32_dpp v47, v142, v47 row_newbcast:11 row_mask:0xf bank_mask:0xf// 0000000156FC: 0A5E5EFA FF015B8E
	v_mul_f32_dpp v48, v142, v48 row_newbcast:12 row_mask:0xf bank_mask:0xf// 000000015704: 0A6060FA FF015C8E
	v_mul_f32_dpp v49, v142, v49 row_newbcast:13 row_mask:0xf bank_mask:0xf// 00000001570C: 0A6262FA FF015D8E
	v_mul_f32_dpp v50, v142, v50 row_newbcast:14 row_mask:0xf bank_mask:0xf// 000000015714: 0A6464FA FF015E8E
	v_mul_f32_dpp v51, v142, v51 row_newbcast:15 row_mask:0xf bank_mask:0xf// 00000001571C: 0A6666FA FF015F8E
	v_mul_f32_dpp v52, v142, v52 row_newbcast:0 row_mask:0xf bank_mask:0xf// 000000015724: 0A6868FA FF01508E
	v_mul_f32_dpp v53, v142, v53 row_newbcast:1 row_mask:0xf bank_mask:0xf// 00000001572C: 0A6A6AFA FF01518E
	v_mul_f32_dpp v54, v142, v54 row_newbcast:2 row_mask:0xf bank_mask:0xf// 000000015734: 0A6C6CFA FF01528E
	v_mul_f32_dpp v55, v142, v55 row_newbcast:3 row_mask:0xf bank_mask:0xf// 00000001573C: 0A6E6EFA FF01538E
	v_mul_f32_dpp v56, v142, v56 row_newbcast:4 row_mask:0xf bank_mask:0xf// 000000015744: 0A7070FA FF01548E
	v_mul_f32_dpp v57, v142, v57 row_newbcast:5 row_mask:0xf bank_mask:0xf// 00000001574C: 0A7272FA FF01558E
	v_mul_f32_dpp v58, v142, v58 row_newbcast:6 row_mask:0xf bank_mask:0xf// 000000015754: 0A7474FA FF01568E
	v_mul_f32_dpp v59, v142, v59 row_newbcast:7 row_mask:0xf bank_mask:0xf// 00000001575C: 0A7676FA FF01578E
	v_mul_f32_dpp v60, v142, v60 row_newbcast:8 row_mask:0xf bank_mask:0xf// 000000015764: 0A7878FA FF01588E
	v_mul_f32_dpp v61, v142, v61 row_newbcast:9 row_mask:0xf bank_mask:0xf// 00000001576C: 0A7A7AFA FF01598E
	v_mul_f32_dpp v62, v142, v62 row_newbcast:10 row_mask:0xf bank_mask:0xf// 000000015774: 0A7C7CFA FF015A8E
	v_mul_f32_dpp v63, v142, v63 row_newbcast:11 row_mask:0xf bank_mask:0xf// 00000001577C: 0A7E7EFA FF015B8E
	v_mul_f32_dpp v64, v142, v64 row_newbcast:12 row_mask:0xf bank_mask:0xf// 000000015784: 0A8080FA FF015C8E
	v_mul_f32_dpp v65, v142, v65 row_newbcast:13 row_mask:0xf bank_mask:0xf// 00000001578C: 0A8282FA FF015D8E
	v_mul_f32_dpp v66, v142, v66 row_newbcast:14 row_mask:0xf bank_mask:0xf// 000000015794: 0A8484FA FF015E8E
	v_mul_f32_dpp v67, v142, v67 row_newbcast:15 row_mask:0xf bank_mask:0xf// 00000001579C: 0A8686FA FF015F8E
	v_add_u32_e32 v196, s64, v215                              // 0000000157A4: 6989AE40
	v_add_u32_e32 v197, 0, v196                                // 0000000157A8: 698B8880
	v_cmp_lt_u32_e32 vcc, v197, v211                           // 0000000157AC: 7D93A7C5
	v_cndmask_b32_e32 v4, 0, v4, vcc                           // 0000000157B0: 00080880
	v_cmp_lt_u32_e32 vcc, v197, v212                           // 0000000157B4: 7D93A9C5
	v_cndmask_b32_e32 v20, 0, v20, vcc                         // 0000000157B8: 00282880
	v_cmp_lt_u32_e32 vcc, v197, v213                           // 0000000157BC: 7D93ABC5
	v_cndmask_b32_e32 v36, 0, v36, vcc                         // 0000000157C0: 00484880
	v_cmp_lt_u32_e32 vcc, v197, v214                           // 0000000157C4: 7D93ADC5
	v_cndmask_b32_e32 v52, 0, v52, vcc                         // 0000000157C8: 00686880
	v_add_u32_e32 v197, 1, v196                                // 0000000157CC: 698B8881
	v_cmp_lt_u32_e32 vcc, v197, v211                           // 0000000157D0: 7D93A7C5
	v_cndmask_b32_e32 v5, 0, v5, vcc                           // 0000000157D4: 000A0A80
	v_cmp_lt_u32_e32 vcc, v197, v212                           // 0000000157D8: 7D93A9C5
	v_cndmask_b32_e32 v21, 0, v21, vcc                         // 0000000157DC: 002A2A80
	v_cmp_lt_u32_e32 vcc, v197, v213                           // 0000000157E0: 7D93ABC5
	v_cndmask_b32_e32 v37, 0, v37, vcc                         // 0000000157E4: 004A4A80
	v_cmp_lt_u32_e32 vcc, v197, v214                           // 0000000157E8: 7D93ADC5
	v_cndmask_b32_e32 v53, 0, v53, vcc                         // 0000000157EC: 006A6A80
	v_add_u32_e32 v197, 2, v196                                // 0000000157F0: 698B8882
	v_cmp_lt_u32_e32 vcc, v197, v211                           // 0000000157F4: 7D93A7C5
	v_cndmask_b32_e32 v6, 0, v6, vcc                           // 0000000157F8: 000C0C80
	v_cmp_lt_u32_e32 vcc, v197, v212                           // 0000000157FC: 7D93A9C5
	v_cndmask_b32_e32 v22, 0, v22, vcc                         // 000000015800: 002C2C80
	v_cmp_lt_u32_e32 vcc, v197, v213                           // 000000015804: 7D93ABC5
	v_cndmask_b32_e32 v38, 0, v38, vcc                         // 000000015808: 004C4C80
	v_cmp_lt_u32_e32 vcc, v197, v214                           // 00000001580C: 7D93ADC5
	v_cndmask_b32_e32 v54, 0, v54, vcc                         // 000000015810: 006C6C80
	v_add_u32_e32 v197, 3, v196                                // 000000015814: 698B8883
	v_cmp_lt_u32_e32 vcc, v197, v211                           // 000000015818: 7D93A7C5
	v_cndmask_b32_e32 v7, 0, v7, vcc                           // 00000001581C: 000E0E80
	v_cmp_lt_u32_e32 vcc, v197, v212                           // 000000015820: 7D93A9C5
	v_cndmask_b32_e32 v23, 0, v23, vcc                         // 000000015824: 002E2E80
	v_cmp_lt_u32_e32 vcc, v197, v213                           // 000000015828: 7D93ABC5
	v_cndmask_b32_e32 v39, 0, v39, vcc                         // 00000001582C: 004E4E80
	v_cmp_lt_u32_e32 vcc, v197, v214                           // 000000015830: 7D93ADC5
	v_cndmask_b32_e32 v55, 0, v55, vcc                         // 000000015834: 006E6E80
	v_add_u32_e32 v197, 64, v196                               // 000000015838: 698B88C0
	v_cmp_lt_u32_e32 vcc, v197, v211                           // 00000001583C: 7D93A7C5
	v_cndmask_b32_e32 v8, 0, v8, vcc                           // 000000015840: 00101080
	v_cmp_lt_u32_e32 vcc, v197, v212                           // 000000015844: 7D93A9C5
	v_cndmask_b32_e32 v24, 0, v24, vcc                         // 000000015848: 00303080
	v_cmp_lt_u32_e32 vcc, v197, v213                           // 00000001584C: 7D93ABC5
	v_cndmask_b32_e32 v40, 0, v40, vcc                         // 000000015850: 00505080
	v_cmp_lt_u32_e32 vcc, v197, v214                           // 000000015854: 7D93ADC5
	v_cndmask_b32_e32 v56, 0, v56, vcc                         // 000000015858: 00707080
	v_add_u32_e32 v197, 0x41, v196                             // 00000001585C: 698B88FF 00000041
	v_cmp_lt_u32_e32 vcc, v197, v211                           // 000000015864: 7D93A7C5
	v_cndmask_b32_e32 v9, 0, v9, vcc                           // 000000015868: 00121280
	v_cmp_lt_u32_e32 vcc, v197, v212                           // 00000001586C: 7D93A9C5
	v_cndmask_b32_e32 v25, 0, v25, vcc                         // 000000015870: 00323280
	v_cmp_lt_u32_e32 vcc, v197, v213                           // 000000015874: 7D93ABC5
	v_cndmask_b32_e32 v41, 0, v41, vcc                         // 000000015878: 00525280
	v_cmp_lt_u32_e32 vcc, v197, v214                           // 00000001587C: 7D93ADC5
	v_cndmask_b32_e32 v57, 0, v57, vcc                         // 000000015880: 00727280
	v_add_u32_e32 v197, 0x42, v196                             // 000000015884: 698B88FF 00000042
	v_cmp_lt_u32_e32 vcc, v197, v211                           // 00000001588C: 7D93A7C5
	v_cndmask_b32_e32 v10, 0, v10, vcc                         // 000000015890: 00141480
	v_cmp_lt_u32_e32 vcc, v197, v212                           // 000000015894: 7D93A9C5
	v_cndmask_b32_e32 v26, 0, v26, vcc                         // 000000015898: 00343480
	v_cmp_lt_u32_e32 vcc, v197, v213                           // 00000001589C: 7D93ABC5
	v_cndmask_b32_e32 v42, 0, v42, vcc                         // 0000000158A0: 00545480
	v_cmp_lt_u32_e32 vcc, v197, v214                           // 0000000158A4: 7D93ADC5
	v_cndmask_b32_e32 v58, 0, v58, vcc                         // 0000000158A8: 00747480
	v_add_u32_e32 v197, 0x43, v196                             // 0000000158AC: 698B88FF 00000043
	v_cmp_lt_u32_e32 vcc, v197, v211                           // 0000000158B4: 7D93A7C5
	v_cndmask_b32_e32 v11, 0, v11, vcc                         // 0000000158B8: 00161680
	v_cmp_lt_u32_e32 vcc, v197, v212                           // 0000000158BC: 7D93A9C5
	v_cndmask_b32_e32 v27, 0, v27, vcc                         // 0000000158C0: 00363680
	v_cmp_lt_u32_e32 vcc, v197, v213                           // 0000000158C4: 7D93ABC5
	v_cndmask_b32_e32 v43, 0, v43, vcc                         // 0000000158C8: 00565680
	v_cmp_lt_u32_e32 vcc, v197, v214                           // 0000000158CC: 7D93ADC5
	v_cndmask_b32_e32 v59, 0, v59, vcc                         // 0000000158D0: 00767680
	v_add_u32_e32 v197, 0x80, v196                             // 0000000158D4: 698B88FF 00000080
	v_cmp_lt_u32_e32 vcc, v197, v211                           // 0000000158DC: 7D93A7C5
	v_cndmask_b32_e32 v12, 0, v12, vcc                         // 0000000158E0: 00181880
	v_cmp_lt_u32_e32 vcc, v197, v212                           // 0000000158E4: 7D93A9C5
	v_cndmask_b32_e32 v28, 0, v28, vcc                         // 0000000158E8: 00383880
	v_cmp_lt_u32_e32 vcc, v197, v213                           // 0000000158EC: 7D93ABC5
	v_cndmask_b32_e32 v44, 0, v44, vcc                         // 0000000158F0: 00585880
	v_cmp_lt_u32_e32 vcc, v197, v214                           // 0000000158F4: 7D93ADC5
	v_cndmask_b32_e32 v60, 0, v60, vcc                         // 0000000158F8: 00787880
	v_add_u32_e32 v197, 0x81, v196                             // 0000000158FC: 698B88FF 00000081
	v_cmp_lt_u32_e32 vcc, v197, v211                           // 000000015904: 7D93A7C5
	v_cndmask_b32_e32 v13, 0, v13, vcc                         // 000000015908: 001A1A80
	v_cmp_lt_u32_e32 vcc, v197, v212                           // 00000001590C: 7D93A9C5
	v_cndmask_b32_e32 v29, 0, v29, vcc                         // 000000015910: 003A3A80
	v_cmp_lt_u32_e32 vcc, v197, v213                           // 000000015914: 7D93ABC5
	v_cndmask_b32_e32 v45, 0, v45, vcc                         // 000000015918: 005A5A80
	v_cmp_lt_u32_e32 vcc, v197, v214                           // 00000001591C: 7D93ADC5
	v_cndmask_b32_e32 v61, 0, v61, vcc                         // 000000015920: 007A7A80
	v_add_u32_e32 v197, 0x82, v196                             // 000000015924: 698B88FF 00000082
	v_cmp_lt_u32_e32 vcc, v197, v211                           // 00000001592C: 7D93A7C5
	v_cndmask_b32_e32 v14, 0, v14, vcc                         // 000000015930: 001C1C80
	v_cmp_lt_u32_e32 vcc, v197, v212                           // 000000015934: 7D93A9C5
	v_cndmask_b32_e32 v30, 0, v30, vcc                         // 000000015938: 003C3C80
	v_cmp_lt_u32_e32 vcc, v197, v213                           // 00000001593C: 7D93ABC5
	v_cndmask_b32_e32 v46, 0, v46, vcc                         // 000000015940: 005C5C80
	v_cmp_lt_u32_e32 vcc, v197, v214                           // 000000015944: 7D93ADC5
	v_cndmask_b32_e32 v62, 0, v62, vcc                         // 000000015948: 007C7C80
	v_add_u32_e32 v197, 0x83, v196                             // 00000001594C: 698B88FF 00000083
	v_cmp_lt_u32_e32 vcc, v197, v211                           // 000000015954: 7D93A7C5
	v_cndmask_b32_e32 v15, 0, v15, vcc                         // 000000015958: 001E1E80
	v_cmp_lt_u32_e32 vcc, v197, v212                           // 00000001595C: 7D93A9C5
	v_cndmask_b32_e32 v31, 0, v31, vcc                         // 000000015960: 003E3E80
	v_cmp_lt_u32_e32 vcc, v197, v213                           // 000000015964: 7D93ABC5
	v_cndmask_b32_e32 v47, 0, v47, vcc                         // 000000015968: 005E5E80
	v_cmp_lt_u32_e32 vcc, v197, v214                           // 00000001596C: 7D93ADC5
	v_cndmask_b32_e32 v63, 0, v63, vcc                         // 000000015970: 007E7E80
	v_add_u32_e32 v197, 0xc0, v196                             // 000000015974: 698B88FF 000000C0
	v_cmp_lt_u32_e32 vcc, v197, v211                           // 00000001597C: 7D93A7C5
	v_cndmask_b32_e32 v16, 0, v16, vcc                         // 000000015980: 00202080
	v_cmp_lt_u32_e32 vcc, v197, v212                           // 000000015984: 7D93A9C5
	v_cndmask_b32_e32 v32, 0, v32, vcc                         // 000000015988: 00404080
	v_cmp_lt_u32_e32 vcc, v197, v213                           // 00000001598C: 7D93ABC5
	v_cndmask_b32_e32 v48, 0, v48, vcc                         // 000000015990: 00606080
	v_cmp_lt_u32_e32 vcc, v197, v214                           // 000000015994: 7D93ADC5
	v_cndmask_b32_e32 v64, 0, v64, vcc                         // 000000015998: 00808080
	v_add_u32_e32 v197, 0xc1, v196                             // 00000001599C: 698B88FF 000000C1
	v_cmp_lt_u32_e32 vcc, v197, v211                           // 0000000159A4: 7D93A7C5
	v_cndmask_b32_e32 v17, 0, v17, vcc                         // 0000000159A8: 00222280
	v_cmp_lt_u32_e32 vcc, v197, v212                           // 0000000159AC: 7D93A9C5
	v_cndmask_b32_e32 v33, 0, v33, vcc                         // 0000000159B0: 00424280
	v_cmp_lt_u32_e32 vcc, v197, v213                           // 0000000159B4: 7D93ABC5
	v_cndmask_b32_e32 v49, 0, v49, vcc                         // 0000000159B8: 00626280
	v_cmp_lt_u32_e32 vcc, v197, v214                           // 0000000159BC: 7D93ADC5
	v_cndmask_b32_e32 v65, 0, v65, vcc                         // 0000000159C0: 00828280
	v_add_u32_e32 v197, 0xc2, v196                             // 0000000159C4: 698B88FF 000000C2
	v_cmp_lt_u32_e32 vcc, v197, v211                           // 0000000159CC: 7D93A7C5
	v_cndmask_b32_e32 v18, 0, v18, vcc                         // 0000000159D0: 00242480
	v_cmp_lt_u32_e32 vcc, v197, v212                           // 0000000159D4: 7D93A9C5
	v_cndmask_b32_e32 v34, 0, v34, vcc                         // 0000000159D8: 00444480
	v_cmp_lt_u32_e32 vcc, v197, v213                           // 0000000159DC: 7D93ABC5
	v_cndmask_b32_e32 v50, 0, v50, vcc                         // 0000000159E0: 00646480
	v_cmp_lt_u32_e32 vcc, v197, v214                           // 0000000159E4: 7D93ADC5
	v_cndmask_b32_e32 v66, 0, v66, vcc                         // 0000000159E8: 00848480
	v_add_u32_e32 v197, 0xc3, v196                             // 0000000159EC: 698B88FF 000000C3
	v_cmp_lt_u32_e32 vcc, v197, v211                           // 0000000159F4: 7D93A7C5
	v_cndmask_b32_e32 v19, 0, v19, vcc                         // 0000000159F8: 00262680
	v_cmp_lt_u32_e32 vcc, v197, v212                           // 0000000159FC: 7D93A9C5
	v_cndmask_b32_e32 v35, 0, v35, vcc                         // 000000015A00: 00464680
	v_cmp_lt_u32_e32 vcc, v197, v213                           // 000000015A04: 7D93ABC5
	v_cndmask_b32_e32 v51, 0, v51, vcc                         // 000000015A08: 00666680
	v_cmp_lt_u32_e32 vcc, v197, v214                           // 000000015A0C: 7D93ADC5
	v_cndmask_b32_e32 v67, 0, v67, vcc                         // 000000015A10: 00868680
	v_mov_b32_e32 v176, 0x358637bd                             // 000000015A14: 7F6002FF 358637BD
	v_max3_f32 v176, |v4|, |v5|, v176                          // 000000015A1C: D1D303B0 06C20B04
	v_max3_f32 v176, |v6|, |v7|, v176                          // 000000015A24: D1D303B0 06C20F06
	v_max3_f32 v176, |v8|, |v9|, v176                          // 000000015A2C: D1D303B0 06C21308
	v_max3_f32 v176, |v10|, |v11|, v176                        // 000000015A34: D1D303B0 06C2170A
	v_max3_f32 v176, |v12|, |v13|, v176                        // 000000015A3C: D1D303B0 06C21B0C
	v_max3_f32 v176, |v14|, |v15|, v176                        // 000000015A44: D1D303B0 06C21F0E
	v_max3_f32 v176, |v16|, |v17|, v176                        // 000000015A4C: D1D303B0 06C22310
	v_max3_f32 v176, |v18|, |v19|, v176                        // 000000015A54: D1D303B0 06C22712
	v_mov_b32_e32 v177, 0x358637bd                             // 000000015A5C: 7F6202FF 358637BD
	v_max3_f32 v177, |v20|, |v21|, v177                        // 000000015A64: D1D303B1 06C62B14
	v_max3_f32 v177, |v22|, |v23|, v177                        // 000000015A6C: D1D303B1 06C62F16
	v_max3_f32 v177, |v24|, |v25|, v177                        // 000000015A74: D1D303B1 06C63318
	v_max3_f32 v177, |v26|, |v27|, v177                        // 000000015A7C: D1D303B1 06C6371A
	v_max3_f32 v177, |v28|, |v29|, v177                        // 000000015A84: D1D303B1 06C63B1C
	v_max3_f32 v177, |v30|, |v31|, v177                        // 000000015A8C: D1D303B1 06C63F1E
	v_max3_f32 v177, |v32|, |v33|, v177                        // 000000015A94: D1D303B1 06C64320
	v_max3_f32 v177, |v34|, |v35|, v177                        // 000000015A9C: D1D303B1 06C64722
	v_mov_b32_e32 v178, 0x358637bd                             // 000000015AA4: 7F6402FF 358637BD
	v_max3_f32 v178, |v36|, |v37|, v178                        // 000000015AAC: D1D303B2 06CA4B24
	v_max3_f32 v178, |v38|, |v39|, v178                        // 000000015AB4: D1D303B2 06CA4F26
	v_max3_f32 v178, |v40|, |v41|, v178                        // 000000015ABC: D1D303B2 06CA5328
	v_max3_f32 v178, |v42|, |v43|, v178                        // 000000015AC4: D1D303B2 06CA572A
	v_max3_f32 v178, |v44|, |v45|, v178                        // 000000015ACC: D1D303B2 06CA5B2C
	v_max3_f32 v178, |v46|, |v47|, v178                        // 000000015AD4: D1D303B2 06CA5F2E
	v_max3_f32 v178, |v48|, |v49|, v178                        // 000000015ADC: D1D303B2 06CA6330
	v_max3_f32 v178, |v50|, |v51|, v178                        // 000000015AE4: D1D303B2 06CA6732
	v_mov_b32_e32 v179, 0x358637bd                             // 000000015AEC: 7F6602FF 358637BD
	v_max3_f32 v179, |v52|, |v53|, v179                        // 000000015AF4: D1D303B3 06CE6B34
	v_max3_f32 v179, |v54|, |v55|, v179                        // 000000015AFC: D1D303B3 06CE6F36
	v_max3_f32 v179, |v56|, |v57|, v179                        // 000000015B04: D1D303B3 06CE7338
	v_max3_f32 v179, |v58|, |v59|, v179                        // 000000015B0C: D1D303B3 06CE773A
	v_max3_f32 v179, |v60|, |v61|, v179                        // 000000015B14: D1D303B3 06CE7B3C
	v_max3_f32 v179, |v62|, |v63|, v179                        // 000000015B1C: D1D303B3 06CE7F3E
	v_max3_f32 v179, |v64|, |v65|, v179                        // 000000015B24: D1D303B3 06CE8340
	v_max3_f32 v179, |v66|, |v67|, v179                        // 000000015B2C: D1D303B3 06CE8742
	ds_bpermute_b32 v180, v200, v176                           // 000000015B34: D87E0000 B400B0C8
	ds_bpermute_b32 v181, v201, v176                           // 000000015B3C: D87E0000 B500B0C9
	ds_bpermute_b32 v182, v202, v176                           // 000000015B44: D87E0000 B600B0CA
	ds_bpermute_b32 v183, v200, v177                           // 000000015B4C: D87E0000 B700B1C8
	ds_bpermute_b32 v184, v201, v177                           // 000000015B54: D87E0000 B800B1C9
	ds_bpermute_b32 v185, v202, v177                           // 000000015B5C: D87E0000 B900B1CA
	ds_bpermute_b32 v186, v200, v178                           // 000000015B64: D87E0000 BA00B2C8
	ds_bpermute_b32 v187, v201, v178                           // 000000015B6C: D87E0000 BB00B2C9
	ds_bpermute_b32 v188, v202, v178                           // 000000015B74: D87E0000 BC00B2CA
	ds_bpermute_b32 v189, v200, v179                           // 000000015B7C: D87E0000 BD00B3C8
	ds_bpermute_b32 v190, v201, v179                           // 000000015B84: D87E0000 BE00B3C9
	ds_bpermute_b32 v191, v202, v179                           // 000000015B8C: D87E0000 BF00B3CA
	s_waitcnt lgkmcnt(9)                                       // 000000015B94: BF8CC97F
	v_max3_f32 v176, v180, v181, v176                          // 000000015B98: D1D300B0 06C36BB4
	v_max_f32_e32 v176, v182, v176                             // 000000015BA0: 176161B6
	s_waitcnt lgkmcnt(6)                                       // 000000015BA4: BF8CC67F
	v_max3_f32 v177, v183, v184, v177                          // 000000015BA8: D1D300B1 06C771B7
	v_max_f32_e32 v177, v185, v177                             // 000000015BB0: 176363B9
	s_waitcnt lgkmcnt(3)                                       // 000000015BB4: BF8CC37F
	v_max3_f32 v178, v186, v187, v178                          // 000000015BB8: D1D300B2 06CB77BA
	v_max_f32_e32 v178, v188, v178                             // 000000015BC0: 176565BC
	s_waitcnt lgkmcnt(0)                                       // 000000015BC4: BF8CC07F
	v_max3_f32 v179, v189, v190, v179                          // 000000015BC8: D1D300B3 06CF7DBD
	v_max_f32_e32 v179, v191, v179                             // 000000015BD0: 176767BF
	ds_write_b128 v247, v[176:179] offset:4096                 // 000000015BD4: D9BE1000 0000B0F7
	buffer_load_dword v141, v231, s[20:23], 0 offen            // 000000015BDC: E0501000 80058DE7
	s_waitcnt lgkmcnt(0)                                       // 000000015BE4: BF8CC07F
	s_barrier                                                  // 000000015BE8: BF8A0000
	buffer_load_dword v143, v232, s[24:27], 0 offen            // 000000015BEC: E0501000 80068FE8
	ds_read_b128 v[180:183], v248 offset:4096                  // 000000015BF4: D9FE1000 B40000F8
	ds_read_b128 v[184:187], v248 offset:4352                  // 000000015BFC: D9FE1100 B80000F8
	ds_read_b128 v[188:191], v248 offset:4608                  // 000000015C04: D9FE1200 BC0000F8
	ds_read_b128 v[192:195], v248 offset:4864                  // 000000015C0C: D9FE1300 C00000F8
	s_waitcnt lgkmcnt(0)                                       // 000000015C14: BF8CC07F
	v_max3_f32 v176, v180, v184, v176                          // 000000015C18: D1D300B0 06C371B4
	v_max3_f32 v177, v181, v185, v177                          // 000000015C20: D1D300B1 06C773B5
	v_max3_f32 v178, v182, v186, v178                          // 000000015C28: D1D300B2 06CB75B6
	v_max3_f32 v179, v183, v187, v179                          // 000000015C30: D1D300B3 06CF77B7
	v_max3_f32 v176, v188, v192, v176                          // 000000015C38: D1D300B0 06C381BC
	v_max3_f32 v177, v189, v193, v177                          // 000000015C40: D1D300B1 06C783BD
	v_max3_f32 v178, v190, v194, v178                          // 000000015C48: D1D300B2 06CB85BE
	v_max3_f32 v179, v191, v195, v179                          // 000000015C50: D1D300B3 06CF87BF
	v_rcp_f32_e32 v176, v176                                   // 000000015C58: 7F6045B0
	v_rcp_f32_e32 v177, v177                                   // 000000015C5C: 7F6245B1
	v_rcp_f32_e32 v178, v178                                   // 000000015C60: 7F6445B2
	v_rcp_f32_e32 v179, v179                                   // 000000015C64: 7F6645B3
	v_mul_f32_e32 v176, 0x43700000, v176                       // 000000015C68: 0B6160FF 43700000
	v_mul_f32_e32 v177, 0x43700000, v177                       // 000000015C70: 0B6362FF 43700000
	v_mul_f32_e32 v178, 0x43700000, v178                       // 000000015C78: 0B6564FF 43700000
	v_mul_f32_e32 v179, 0x43700000, v179                       // 000000015C80: 0B6766FF 43700000
	v_mul_f32_e32 v4, v176, v4                                 // 000000015C88: 0A0809B0
	v_mul_f32_e32 v5, v176, v5                                 // 000000015C8C: 0A0A0BB0
	v_mul_f32_e32 v6, v176, v6                                 // 000000015C90: 0A0C0DB0
	v_mul_f32_e32 v7, v176, v7                                 // 000000015C94: 0A0E0FB0
	v_mul_f32_e32 v8, v176, v8                                 // 000000015C98: 0A1011B0
	v_mul_f32_e32 v9, v176, v9                                 // 000000015C9C: 0A1213B0
	v_mul_f32_e32 v10, v176, v10                               // 000000015CA0: 0A1415B0
	v_mul_f32_e32 v11, v176, v11                               // 000000015CA4: 0A1617B0
	v_mul_f32_e32 v12, v176, v12                               // 000000015CA8: 0A1819B0
	v_mul_f32_e32 v13, v176, v13                               // 000000015CAC: 0A1A1BB0
	v_mul_f32_e32 v14, v176, v14                               // 000000015CB0: 0A1C1DB0
	v_mul_f32_e32 v15, v176, v15                               // 000000015CB4: 0A1E1FB0
	v_mul_f32_e32 v16, v176, v16                               // 000000015CB8: 0A2021B0
	v_mul_f32_e32 v17, v176, v17                               // 000000015CBC: 0A2223B0
	v_mul_f32_e32 v18, v176, v18                               // 000000015CC0: 0A2425B0
	v_mul_f32_e32 v19, v176, v19                               // 000000015CC4: 0A2627B0
	v_mul_f32_e32 v20, v177, v20                               // 000000015CC8: 0A2829B1
	v_mul_f32_e32 v21, v177, v21                               // 000000015CCC: 0A2A2BB1
	v_mul_f32_e32 v22, v177, v22                               // 000000015CD0: 0A2C2DB1
	v_mul_f32_e32 v23, v177, v23                               // 000000015CD4: 0A2E2FB1
	v_mul_f32_e32 v24, v177, v24                               // 000000015CD8: 0A3031B1
	v_mul_f32_e32 v25, v177, v25                               // 000000015CDC: 0A3233B1
	v_mul_f32_e32 v26, v177, v26                               // 000000015CE0: 0A3435B1
	v_mul_f32_e32 v27, v177, v27                               // 000000015CE4: 0A3637B1
	v_mul_f32_e32 v28, v177, v28                               // 000000015CE8: 0A3839B1
	v_mul_f32_e32 v29, v177, v29                               // 000000015CEC: 0A3A3BB1
	v_mul_f32_e32 v30, v177, v30                               // 000000015CF0: 0A3C3DB1
	v_mul_f32_e32 v31, v177, v31                               // 000000015CF4: 0A3E3FB1
	v_mul_f32_e32 v32, v177, v32                               // 000000015CF8: 0A4041B1
	v_mul_f32_e32 v33, v177, v33                               // 000000015CFC: 0A4243B1
	v_mul_f32_e32 v34, v177, v34                               // 000000015D00: 0A4445B1
	v_mul_f32_e32 v35, v177, v35                               // 000000015D04: 0A4647B1
	v_mul_f32_e32 v36, v178, v36                               // 000000015D08: 0A4849B2
	v_mul_f32_e32 v37, v178, v37                               // 000000015D0C: 0A4A4BB2
	v_mul_f32_e32 v38, v178, v38                               // 000000015D10: 0A4C4DB2
	v_mul_f32_e32 v39, v178, v39                               // 000000015D14: 0A4E4FB2
	v_mul_f32_e32 v40, v178, v40                               // 000000015D18: 0A5051B2
	v_mul_f32_e32 v41, v178, v41                               // 000000015D1C: 0A5253B2
	v_mul_f32_e32 v42, v178, v42                               // 000000015D20: 0A5455B2
	v_mul_f32_e32 v43, v178, v43                               // 000000015D24: 0A5657B2
	v_mul_f32_e32 v44, v178, v44                               // 000000015D28: 0A5859B2
	v_mul_f32_e32 v45, v178, v45                               // 000000015D2C: 0A5A5BB2
	v_mul_f32_e32 v46, v178, v46                               // 000000015D30: 0A5C5DB2
	v_mul_f32_e32 v47, v178, v47                               // 000000015D34: 0A5E5FB2
	v_mul_f32_e32 v48, v178, v48                               // 000000015D38: 0A6061B2
	v_mul_f32_e32 v49, v178, v49                               // 000000015D3C: 0A6263B2
	v_mul_f32_e32 v50, v178, v50                               // 000000015D40: 0A6465B2
	v_mul_f32_e32 v51, v178, v51                               // 000000015D44: 0A6667B2
	v_mul_f32_e32 v52, v179, v52                               // 000000015D48: 0A6869B3
	v_mul_f32_e32 v53, v179, v53                               // 000000015D4C: 0A6A6BB3
	v_mul_f32_e32 v54, v179, v54                               // 000000015D50: 0A6C6DB3
	v_mul_f32_e32 v55, v179, v55                               // 000000015D54: 0A6E6FB3
	v_mul_f32_e32 v56, v179, v56                               // 000000015D58: 0A7071B3
	v_mul_f32_e32 v57, v179, v57                               // 000000015D5C: 0A7273B3
	v_mul_f32_e32 v58, v179, v58                               // 000000015D60: 0A7475B3
	v_mul_f32_e32 v59, v179, v59                               // 000000015D64: 0A7677B3
	v_mul_f32_e32 v60, v179, v60                               // 000000015D68: 0A7879B3
	v_mul_f32_e32 v61, v179, v61                               // 000000015D6C: 0A7A7BB3
	v_mul_f32_e32 v62, v179, v62                               // 000000015D70: 0A7C7DB3
	v_mul_f32_e32 v63, v179, v63                               // 000000015D74: 0A7E7FB3
	v_mul_f32_e32 v64, v179, v64                               // 000000015D78: 0A8081B3
	v_mul_f32_e32 v65, v179, v65                               // 000000015D7C: 0A8283B3
	v_mul_f32_e32 v66, v179, v66                               // 000000015D80: 0A8485B3
	v_mul_f32_e32 v67, v179, v67                               // 000000015D84: 0A8687B3
	v_cvt_pk_fp8_f32 v4, v4, v5                                // 000000015D88: D2A20004 00020B04
	v_cvt_pk_fp8_f32 v4, v6, v7 op_sel:[0,0,1]                 // 000000015D90: D2A24004 00020F06
	v_cvt_pk_fp8_f32 v5, v8, v9                                // 000000015D98: D2A20005 00021308
	v_cvt_pk_fp8_f32 v5, v10, v11 op_sel:[0,0,1]               // 000000015DA0: D2A24005 0002170A
	v_cvt_pk_fp8_f32 v6, v12, v13                              // 000000015DA8: D2A20006 00021B0C
	v_cvt_pk_fp8_f32 v6, v14, v15 op_sel:[0,0,1]               // 000000015DB0: D2A24006 00021F0E
	v_cvt_pk_fp8_f32 v7, v16, v17                              // 000000015DB8: D2A20007 00022310
	v_cvt_pk_fp8_f32 v7, v18, v19 op_sel:[0,0,1]               // 000000015DC0: D2A24007 00022712
	v_cvt_pk_fp8_f32 v8, v20, v21                              // 000000015DC8: D2A20008 00022B14
	v_cvt_pk_fp8_f32 v8, v22, v23 op_sel:[0,0,1]               // 000000015DD0: D2A24008 00022F16
	v_cvt_pk_fp8_f32 v9, v24, v25                              // 000000015DD8: D2A20009 00023318
	v_cvt_pk_fp8_f32 v9, v26, v27 op_sel:[0,0,1]               // 000000015DE0: D2A24009 0002371A
	v_cvt_pk_fp8_f32 v10, v28, v29                             // 000000015DE8: D2A2000A 00023B1C
	v_cvt_pk_fp8_f32 v10, v30, v31 op_sel:[0,0,1]              // 000000015DF0: D2A2400A 00023F1E
	v_cvt_pk_fp8_f32 v11, v32, v33                             // 000000015DF8: D2A2000B 00024320
	v_cvt_pk_fp8_f32 v11, v34, v35 op_sel:[0,0,1]              // 000000015E00: D2A2400B 00024722
	v_cvt_pk_fp8_f32 v12, v36, v37                             // 000000015E08: D2A2000C 00024B24
	v_cvt_pk_fp8_f32 v12, v38, v39 op_sel:[0,0,1]              // 000000015E10: D2A2400C 00024F26
	v_cvt_pk_fp8_f32 v13, v40, v41                             // 000000015E18: D2A2000D 00025328
	v_cvt_pk_fp8_f32 v13, v42, v43 op_sel:[0,0,1]              // 000000015E20: D2A2400D 0002572A
	v_cvt_pk_fp8_f32 v14, v44, v45                             // 000000015E28: D2A2000E 00025B2C
	v_cvt_pk_fp8_f32 v14, v46, v47 op_sel:[0,0,1]              // 000000015E30: D2A2400E 00025F2E
	v_cvt_pk_fp8_f32 v15, v48, v49                             // 000000015E38: D2A2000F 00026330
	v_cvt_pk_fp8_f32 v15, v50, v51 op_sel:[0,0,1]              // 000000015E40: D2A2400F 00026732
	v_cvt_pk_fp8_f32 v16, v52, v53                             // 000000015E48: D2A20010 00026B34
	v_cvt_pk_fp8_f32 v16, v54, v55 op_sel:[0,0,1]              // 000000015E50: D2A24010 00026F36
	v_cvt_pk_fp8_f32 v17, v56, v57                             // 000000015E58: D2A20011 00027338
	v_cvt_pk_fp8_f32 v17, v58, v59 op_sel:[0,0,1]              // 000000015E60: D2A24011 0002773A
	v_cvt_pk_fp8_f32 v18, v60, v61                             // 000000015E68: D2A20012 00027B3C
	v_cvt_pk_fp8_f32 v18, v62, v63 op_sel:[0,0,1]              // 000000015E70: D2A24012 00027F3E
	v_cvt_pk_fp8_f32 v19, v64, v65                             // 000000015E78: D2A20013 00028340
	v_cvt_pk_fp8_f32 v19, v66, v67 op_sel:[0,0,1]              // 000000015E80: D2A24013 00028742
	ds_write_b32 v249, v4 offset:8192                          // 000000015E88: D81A2000 000004F9
	ds_write_b32 v249, v5 offset:9216                          // 000000015E90: D81A2400 000005F9
	ds_write_b32 v249, v6 offset:10240                         // 000000015E98: D81A2800 000006F9
	ds_write_b32 v249, v7 offset:11264                         // 000000015EA0: D81A2C00 000007F9
	ds_write_b32 v249, v8 offset:12288                         // 000000015EA8: D81A3000 000008F9
	ds_write_b32 v249, v9 offset:13312                         // 000000015EB0: D81A3400 000009F9
	ds_write_b32 v249, v10 offset:14336                        // 000000015EB8: D81A3800 00000AF9
	ds_write_b32 v249, v11 offset:15360                        // 000000015EC0: D81A3C00 00000BF9
	ds_write_b32 v249, v12 offset:16384                        // 000000015EC8: D81A4000 00000CF9
	ds_write_b32 v249, v13 offset:17408                        // 000000015ED0: D81A4400 00000DF9
	ds_write_b32 v249, v14 offset:18432                        // 000000015ED8: D81A4800 00000EF9
	ds_write_b32 v249, v15 offset:19456                        // 000000015EE0: D81A4C00 00000FF9
	ds_write_b32 v249, v16 offset:20480                        // 000000015EE8: D81A5000 000010F9
	ds_write_b32 v249, v17 offset:21504                        // 000000015EF0: D81A5400 000011F9
	ds_write_b32 v249, v18 offset:22528                        // 000000015EF8: D81A5800 000012F9
	ds_write_b32 v249, v19 offset:23552                        // 000000015F00: D81A5C00 000013F9
	v_rcp_f32_e32 v144, v176                                   // 000000015F08: 7F2045B0
	v_rcp_f32_e32 v146, v177                                   // 000000015F0C: 7F2445B1
	v_rcp_f32_e32 v148, v178                                   // 000000015F10: 7F2845B2
	v_rcp_f32_e32 v150, v179                                   // 000000015F14: 7F2C45B3
	v_mov_b32_e32 v145, v144                                   // 000000015F18: 7F220390
	v_mov_b32_e32 v147, v146                                   // 000000015F1C: 7F260392
	v_mov_b32_e32 v149, v148                                   // 000000015F20: 7F2A0394
	v_mov_b32_e32 v151, v150                                   // 000000015F24: 7F2E0396
	v_pk_add_f32 v[100:101], v[100:101], v[68:69]              // 000000015F28: D3B24064 18028964
	v_pk_add_f32 v[102:103], v[102:103], v[70:71]              // 000000015F30: D3B24066 18028D66
	v_pk_add_f32 v[104:105], v[104:105], v[72:73]              // 000000015F38: D3B24068 18029168
	v_pk_add_f32 v[106:107], v[106:107], v[74:75]              // 000000015F40: D3B2406A 1802956A
	v_pk_add_f32 v[108:109], v[108:109], v[76:77]              // 000000015F48: D3B2406C 1802996C
	v_pk_add_f32 v[110:111], v[110:111], v[78:79]              // 000000015F50: D3B2406E 18029D6E
	v_pk_add_f32 v[112:113], v[112:113], v[80:81]              // 000000015F58: D3B24070 1802A170
	v_pk_add_f32 v[114:115], v[114:115], v[82:83]              // 000000015F60: D3B24072 1802A572
	v_pk_add_f32 v[116:117], v[116:117], v[84:85]              // 000000015F68: D3B24074 1802A974
	v_pk_add_f32 v[118:119], v[118:119], v[86:87]              // 000000015F70: D3B24076 1802AD76
	v_pk_add_f32 v[120:121], v[120:121], v[88:89]              // 000000015F78: D3B24078 1802B178
	v_pk_add_f32 v[122:123], v[122:123], v[90:91]              // 000000015F80: D3B2407A 1802B57A
	v_pk_add_f32 v[124:125], v[124:125], v[92:93]              // 000000015F88: D3B2407C 1802B97C
	v_pk_add_f32 v[126:127], v[126:127], v[94:95]              // 000000015F90: D3B2407E 1802BD7E
	v_pk_add_f32 v[128:129], v[128:129], v[96:97]              // 000000015F98: D3B24080 1802C180
	v_pk_add_f32 v[130:131], v[130:131], v[98:99]              // 000000015FA0: D3B24082 1802C582
	s_waitcnt lgkmcnt(0)                                       // 000000015FA8: BF8CC07F
	s_barrier                                                  // 000000015FAC: BF8A0000
	ds_read_b128 v[4:7], v250 offset:8192                      // 000000015FB0: D9FE2000 040000FA
	ds_read_b128 v[8:11], v250 offset:9216                     // 000000015FB8: D9FE2400 080000FA
	ds_read_b128 v[12:15], v250 offset:10240                   // 000000015FC0: D9FE2800 0C0000FA
	ds_read_b128 v[16:19], v250 offset:11264                   // 000000015FC8: D9FE2C00 100000FA
	ds_read_b128 v[20:23], v250 offset:12288                   // 000000015FD0: D9FE3000 140000FA
	ds_read_b128 v[24:27], v250 offset:13312                   // 000000015FD8: D9FE3400 180000FA
	ds_read_b128 v[28:31], v250 offset:14336                   // 000000015FE0: D9FE3800 1C0000FA
	ds_read_b128 v[32:35], v250 offset:15360                   // 000000015FE8: D9FE3C00 200000FA
	ds_read_b128 v[36:39], v250 offset:16384                   // 000000015FF0: D9FE4000 240000FA
	ds_read_b128 v[40:43], v250 offset:17408                   // 000000015FF8: D9FE4400 280000FA
	ds_read_b128 v[44:47], v250 offset:18432                   // 000000016000: D9FE4800 2C0000FA
	ds_read_b128 v[48:51], v250 offset:19456                   // 000000016008: D9FE4C00 300000FA
	ds_read_b128 v[52:55], v250 offset:20480                   // 000000016010: D9FE5000 340000FA
	ds_read_b128 v[56:59], v250 offset:21504                   // 000000016018: D9FE5400 380000FA
	ds_read_b128 v[60:63], v250 offset:22528                   // 000000016020: D9FE5800 3C0000FA
	ds_read_b128 v[64:67], v250 offset:23552                   // 000000016028: D9FE5C00 400000FA
	s_waitcnt vmcnt(10)                                        // 000000016030: BF8C0F7A
	v_lshrrev_b32_e32 v203, 4, v0                              // 000000016034: 21960084
	v_lshlrev_b32_e32 v203, 4, v203                            // 000000016038: 25979684
	v_add_u32_e32 v196, s64, v203                              // 00000001603C: 69899640
	v_add_u32_e32 v196, 4, v196                                // 000000016040: 69898884
	v_sub_i32 v196, v196, s62                                  // 000000016044: D29D00C4 00007DC4
	s_mov_b32 s54, 0                                           // 00000001604C: BEB60080
	v_add_i32 v197, s54, v196                                  // 000000016050: D29C00C5 00038836
	v_cmp_lt_i32_e64 vcc, v197, 4                              // 000000016058: D0C1006A 000109C5
	v_min_u32_e32 v197, 4, v197                                // 000000016060: 1D8B8A84
	v_lshlrev_b32_e32 v197, 3, v197                            // 000000016064: 258B8A83
	v_lshrrev_b32_e64 v198, v197, -1                           // 000000016068: D11000C6 000183C5
	v_accvgpr_read_b32 v199, a96                               // 000000016070: D3D840C7 18000160
	v_cndmask_b32_e32 v199, 0, v199, vcc                       // 000000016078: 018F8E80
	v_and_b32_e32 v199, v199, v198                             // 00000001607C: 278F8DC7
	v_accvgpr_write_b32 a96, v199                              // 000000016080: D3D94060 180001C7
	v_accvgpr_read_b32 v199, a112                              // 000000016088: D3D840C7 18000170
	v_cndmask_b32_e32 v199, 0, v199, vcc                       // 000000016090: 018F8E80
	v_and_b32_e32 v199, v199, v198                             // 000000016094: 278F8DC7
	v_accvgpr_write_b32 a112, v199                             // 000000016098: D3D94070 180001C7
	s_mov_b32 s54, 4                                           // 0000000160A0: BEB60084
	v_add_i32 v197, s54, v196                                  // 0000000160A4: D29C00C5 00038836
	v_cmp_lt_i32_e64 vcc, v197, 4                              // 0000000160AC: D0C1006A 000109C5
	v_min_u32_e32 v197, 4, v197                                // 0000000160B4: 1D8B8A84
	v_lshlrev_b32_e32 v197, 3, v197                            // 0000000160B8: 258B8A83
	v_lshrrev_b32_e64 v198, v197, -1                           // 0000000160BC: D11000C6 000183C5
	v_accvgpr_read_b32 v199, a97                               // 0000000160C4: D3D840C7 18000161
	v_cndmask_b32_e32 v199, 0, v199, vcc                       // 0000000160CC: 018F8E80
	v_and_b32_e32 v199, v199, v198                             // 0000000160D0: 278F8DC7
	v_accvgpr_write_b32 a97, v199                              // 0000000160D4: D3D94061 180001C7
	v_accvgpr_read_b32 v199, a113                              // 0000000160DC: D3D840C7 18000171
	v_cndmask_b32_e32 v199, 0, v199, vcc                       // 0000000160E4: 018F8E80
	v_and_b32_e32 v199, v199, v198                             // 0000000160E8: 278F8DC7
	v_accvgpr_write_b32 a113, v199                             // 0000000160EC: D3D94071 180001C7
	s_mov_b32 s54, 8                                           // 0000000160F4: BEB60088
	v_add_i32 v197, s54, v196                                  // 0000000160F8: D29C00C5 00038836
	v_cmp_lt_i32_e64 vcc, v197, 4                              // 000000016100: D0C1006A 000109C5
	v_min_u32_e32 v197, 4, v197                                // 000000016108: 1D8B8A84
	v_lshlrev_b32_e32 v197, 3, v197                            // 00000001610C: 258B8A83
	v_lshrrev_b32_e64 v198, v197, -1                           // 000000016110: D11000C6 000183C5
	v_accvgpr_read_b32 v199, a98                               // 000000016118: D3D840C7 18000162
	v_cndmask_b32_e32 v199, 0, v199, vcc                       // 000000016120: 018F8E80
	v_and_b32_e32 v199, v199, v198                             // 000000016124: 278F8DC7
	v_accvgpr_write_b32 a98, v199                              // 000000016128: D3D94062 180001C7
	v_accvgpr_read_b32 v199, a114                              // 000000016130: D3D840C7 18000172
	v_cndmask_b32_e32 v199, 0, v199, vcc                       // 000000016138: 018F8E80
	v_and_b32_e32 v199, v199, v198                             // 00000001613C: 278F8DC7
	v_accvgpr_write_b32 a114, v199                             // 000000016140: D3D94072 180001C7
	s_mov_b32 s54, 12                                          // 000000016148: BEB6008C
	v_add_i32 v197, s54, v196                                  // 00000001614C: D29C00C5 00038836
	v_cmp_lt_i32_e64 vcc, v197, 4                              // 000000016154: D0C1006A 000109C5
	v_min_u32_e32 v197, 4, v197                                // 00000001615C: 1D8B8A84
	v_lshlrev_b32_e32 v197, 3, v197                            // 000000016160: 258B8A83
	v_lshrrev_b32_e64 v198, v197, -1                           // 000000016164: D11000C6 000183C5
	v_accvgpr_read_b32 v199, a99                               // 00000001616C: D3D840C7 18000163
	v_cndmask_b32_e32 v199, 0, v199, vcc                       // 000000016174: 018F8E80
	v_and_b32_e32 v199, v199, v198                             // 000000016178: 278F8DC7
	v_accvgpr_write_b32 a99, v199                              // 00000001617C: D3D94063 180001C7
	v_accvgpr_read_b32 v199, a115                              // 000000016184: D3D840C7 18000173
	v_cndmask_b32_e32 v199, 0, v199, vcc                       // 00000001618C: 018F8E80
	v_and_b32_e32 v199, v199, v198                             // 000000016190: 278F8DC7
	v_accvgpr_write_b32 a115, v199                             // 000000016194: D3D94073 180001C7
	s_mov_b32 s54, 64                                          // 00000001619C: BEB600C0
	v_add_i32 v197, s54, v196                                  // 0000000161A0: D29C00C5 00038836
	v_cmp_lt_i32_e64 vcc, v197, 4                              // 0000000161A8: D0C1006A 000109C5
	v_min_u32_e32 v197, 4, v197                                // 0000000161B0: 1D8B8A84
	v_lshlrev_b32_e32 v197, 3, v197                            // 0000000161B4: 258B8A83
	v_lshrrev_b32_e64 v198, v197, -1                           // 0000000161B8: D11000C6 000183C5
	v_accvgpr_read_b32 v199, a100                              // 0000000161C0: D3D840C7 18000164
	v_cndmask_b32_e32 v199, 0, v199, vcc                       // 0000000161C8: 018F8E80
	v_and_b32_e32 v199, v199, v198                             // 0000000161CC: 278F8DC7
	v_accvgpr_write_b32 a100, v199                             // 0000000161D0: D3D94064 180001C7
	v_accvgpr_read_b32 v199, a116                              // 0000000161D8: D3D840C7 18000174
	v_cndmask_b32_e32 v199, 0, v199, vcc                       // 0000000161E0: 018F8E80
	v_and_b32_e32 v199, v199, v198                             // 0000000161E4: 278F8DC7
	v_accvgpr_write_b32 a116, v199                             // 0000000161E8: D3D94074 180001C7
	s_mov_b32 s54, 0x44                                        // 0000000161F0: BEB600FF 00000044
	v_add_i32 v197, s54, v196                                  // 0000000161F8: D29C00C5 00038836
	v_cmp_lt_i32_e64 vcc, v197, 4                              // 000000016200: D0C1006A 000109C5
	v_min_u32_e32 v197, 4, v197                                // 000000016208: 1D8B8A84
	v_lshlrev_b32_e32 v197, 3, v197                            // 00000001620C: 258B8A83
	v_lshrrev_b32_e64 v198, v197, -1                           // 000000016210: D11000C6 000183C5
	v_accvgpr_read_b32 v199, a101                              // 000000016218: D3D840C7 18000165
	v_cndmask_b32_e32 v199, 0, v199, vcc                       // 000000016220: 018F8E80
	v_and_b32_e32 v199, v199, v198                             // 000000016224: 278F8DC7
	v_accvgpr_write_b32 a101, v199                             // 000000016228: D3D94065 180001C7
	v_accvgpr_read_b32 v199, a117                              // 000000016230: D3D840C7 18000175
	v_cndmask_b32_e32 v199, 0, v199, vcc                       // 000000016238: 018F8E80
	v_and_b32_e32 v199, v199, v198                             // 00000001623C: 278F8DC7
	v_accvgpr_write_b32 a117, v199                             // 000000016240: D3D94075 180001C7
	s_mov_b32 s54, 0x48                                        // 000000016248: BEB600FF 00000048
	v_add_i32 v197, s54, v196                                  // 000000016250: D29C00C5 00038836
	v_cmp_lt_i32_e64 vcc, v197, 4                              // 000000016258: D0C1006A 000109C5
	v_min_u32_e32 v197, 4, v197                                // 000000016260: 1D8B8A84
	v_lshlrev_b32_e32 v197, 3, v197                            // 000000016264: 258B8A83
	v_lshrrev_b32_e64 v198, v197, -1                           // 000000016268: D11000C6 000183C5
	v_accvgpr_read_b32 v199, a102                              // 000000016270: D3D840C7 18000166
	v_cndmask_b32_e32 v199, 0, v199, vcc                       // 000000016278: 018F8E80
	v_and_b32_e32 v199, v199, v198                             // 00000001627C: 278F8DC7
	v_accvgpr_write_b32 a102, v199                             // 000000016280: D3D94066 180001C7
	v_accvgpr_read_b32 v199, a118                              // 000000016288: D3D840C7 18000176
	v_cndmask_b32_e32 v199, 0, v199, vcc                       // 000000016290: 018F8E80
	v_and_b32_e32 v199, v199, v198                             // 000000016294: 278F8DC7
	v_accvgpr_write_b32 a118, v199                             // 000000016298: D3D94076 180001C7
	s_mov_b32 s54, 0x4c                                        // 0000000162A0: BEB600FF 0000004C
	v_add_i32 v197, s54, v196                                  // 0000000162A8: D29C00C5 00038836
	v_cmp_lt_i32_e64 vcc, v197, 4                              // 0000000162B0: D0C1006A 000109C5
	v_min_u32_e32 v197, 4, v197                                // 0000000162B8: 1D8B8A84
	v_lshlrev_b32_e32 v197, 3, v197                            // 0000000162BC: 258B8A83
	v_lshrrev_b32_e64 v198, v197, -1                           // 0000000162C0: D11000C6 000183C5
	v_accvgpr_read_b32 v199, a103                              // 0000000162C8: D3D840C7 18000167
	v_cndmask_b32_e32 v199, 0, v199, vcc                       // 0000000162D0: 018F8E80
	v_and_b32_e32 v199, v199, v198                             // 0000000162D4: 278F8DC7
	v_accvgpr_write_b32 a103, v199                             // 0000000162D8: D3D94067 180001C7
	v_accvgpr_read_b32 v199, a119                              // 0000000162E0: D3D840C7 18000177
	v_cndmask_b32_e32 v199, 0, v199, vcc                       // 0000000162E8: 018F8E80
	v_and_b32_e32 v199, v199, v198                             // 0000000162EC: 278F8DC7
	v_accvgpr_write_b32 a119, v199                             // 0000000162F0: D3D94077 180001C7
	s_mov_b32 s54, 0x80                                        // 0000000162F8: BEB600FF 00000080
	v_add_i32 v197, s54, v196                                  // 000000016300: D29C00C5 00038836
	v_cmp_lt_i32_e64 vcc, v197, 4                              // 000000016308: D0C1006A 000109C5
	v_min_u32_e32 v197, 4, v197                                // 000000016310: 1D8B8A84
	v_lshlrev_b32_e32 v197, 3, v197                            // 000000016314: 258B8A83
	v_lshrrev_b32_e64 v198, v197, -1                           // 000000016318: D11000C6 000183C5
	v_accvgpr_read_b32 v199, a104                              // 000000016320: D3D840C7 18000168
	v_cndmask_b32_e32 v199, 0, v199, vcc                       // 000000016328: 018F8E80
	v_and_b32_e32 v199, v199, v198                             // 00000001632C: 278F8DC7
	v_accvgpr_write_b32 a104, v199                             // 000000016330: D3D94068 180001C7
	v_accvgpr_read_b32 v199, a120                              // 000000016338: D3D840C7 18000178
	v_cndmask_b32_e32 v199, 0, v199, vcc                       // 000000016340: 018F8E80
	v_and_b32_e32 v199, v199, v198                             // 000000016344: 278F8DC7
	v_accvgpr_write_b32 a120, v199                             // 000000016348: D3D94078 180001C7
	s_mov_b32 s54, 0x84                                        // 000000016350: BEB600FF 00000084
	v_add_i32 v197, s54, v196                                  // 000000016358: D29C00C5 00038836
	v_cmp_lt_i32_e64 vcc, v197, 4                              // 000000016360: D0C1006A 000109C5
	v_min_u32_e32 v197, 4, v197                                // 000000016368: 1D8B8A84
	v_lshlrev_b32_e32 v197, 3, v197                            // 00000001636C: 258B8A83
	v_lshrrev_b32_e64 v198, v197, -1                           // 000000016370: D11000C6 000183C5
	v_accvgpr_read_b32 v199, a105                              // 000000016378: D3D840C7 18000169
	v_cndmask_b32_e32 v199, 0, v199, vcc                       // 000000016380: 018F8E80
	v_and_b32_e32 v199, v199, v198                             // 000000016384: 278F8DC7
	v_accvgpr_write_b32 a105, v199                             // 000000016388: D3D94069 180001C7
	v_accvgpr_read_b32 v199, a121                              // 000000016390: D3D840C7 18000179
	v_cndmask_b32_e32 v199, 0, v199, vcc                       // 000000016398: 018F8E80
	v_and_b32_e32 v199, v199, v198                             // 00000001639C: 278F8DC7
	v_accvgpr_write_b32 a121, v199                             // 0000000163A0: D3D94079 180001C7
	s_mov_b32 s54, 0x88                                        // 0000000163A8: BEB600FF 00000088
	v_add_i32 v197, s54, v196                                  // 0000000163B0: D29C00C5 00038836
	v_cmp_lt_i32_e64 vcc, v197, 4                              // 0000000163B8: D0C1006A 000109C5
	v_min_u32_e32 v197, 4, v197                                // 0000000163C0: 1D8B8A84
	v_lshlrev_b32_e32 v197, 3, v197                            // 0000000163C4: 258B8A83
	v_lshrrev_b32_e64 v198, v197, -1                           // 0000000163C8: D11000C6 000183C5
	v_accvgpr_read_b32 v199, a106                              // 0000000163D0: D3D840C7 1800016A
	v_cndmask_b32_e32 v199, 0, v199, vcc                       // 0000000163D8: 018F8E80
	v_and_b32_e32 v199, v199, v198                             // 0000000163DC: 278F8DC7
	v_accvgpr_write_b32 a106, v199                             // 0000000163E0: D3D9406A 180001C7
	v_accvgpr_read_b32 v199, a122                              // 0000000163E8: D3D840C7 1800017A
	v_cndmask_b32_e32 v199, 0, v199, vcc                       // 0000000163F0: 018F8E80
	v_and_b32_e32 v199, v199, v198                             // 0000000163F4: 278F8DC7
	v_accvgpr_write_b32 a122, v199                             // 0000000163F8: D3D9407A 180001C7
	s_mov_b32 s54, 0x8c                                        // 000000016400: BEB600FF 0000008C
	v_add_i32 v197, s54, v196                                  // 000000016408: D29C00C5 00038836
	v_cmp_lt_i32_e64 vcc, v197, 4                              // 000000016410: D0C1006A 000109C5
	v_min_u32_e32 v197, 4, v197                                // 000000016418: 1D8B8A84
	v_lshlrev_b32_e32 v197, 3, v197                            // 00000001641C: 258B8A83
	v_lshrrev_b32_e64 v198, v197, -1                           // 000000016420: D11000C6 000183C5
	v_accvgpr_read_b32 v199, a107                              // 000000016428: D3D840C7 1800016B
	v_cndmask_b32_e32 v199, 0, v199, vcc                       // 000000016430: 018F8E80
	v_and_b32_e32 v199, v199, v198                             // 000000016434: 278F8DC7
	v_accvgpr_write_b32 a107, v199                             // 000000016438: D3D9406B 180001C7
	v_accvgpr_read_b32 v199, a123                              // 000000016440: D3D840C7 1800017B
	v_cndmask_b32_e32 v199, 0, v199, vcc                       // 000000016448: 018F8E80
	v_and_b32_e32 v199, v199, v198                             // 00000001644C: 278F8DC7
	v_accvgpr_write_b32 a123, v199                             // 000000016450: D3D9407B 180001C7
	s_mov_b32 s54, 0xc0                                        // 000000016458: BEB600FF 000000C0
	v_add_i32 v197, s54, v196                                  // 000000016460: D29C00C5 00038836
	v_cmp_lt_i32_e64 vcc, v197, 4                              // 000000016468: D0C1006A 000109C5
	v_min_u32_e32 v197, 4, v197                                // 000000016470: 1D8B8A84
	v_lshlrev_b32_e32 v197, 3, v197                            // 000000016474: 258B8A83
	v_lshrrev_b32_e64 v198, v197, -1                           // 000000016478: D11000C6 000183C5
	v_accvgpr_read_b32 v199, a108                              // 000000016480: D3D840C7 1800016C
	v_cndmask_b32_e32 v199, 0, v199, vcc                       // 000000016488: 018F8E80
	v_and_b32_e32 v199, v199, v198                             // 00000001648C: 278F8DC7
	v_accvgpr_write_b32 a108, v199                             // 000000016490: D3D9406C 180001C7
	v_accvgpr_read_b32 v199, a124                              // 000000016498: D3D840C7 1800017C
	v_cndmask_b32_e32 v199, 0, v199, vcc                       // 0000000164A0: 018F8E80
	v_and_b32_e32 v199, v199, v198                             // 0000000164A4: 278F8DC7
	v_accvgpr_write_b32 a124, v199                             // 0000000164A8: D3D9407C 180001C7
	s_mov_b32 s54, 0xc4                                        // 0000000164B0: BEB600FF 000000C4
	v_add_i32 v197, s54, v196                                  // 0000000164B8: D29C00C5 00038836
	v_cmp_lt_i32_e64 vcc, v197, 4                              // 0000000164C0: D0C1006A 000109C5
	v_min_u32_e32 v197, 4, v197                                // 0000000164C8: 1D8B8A84
	v_lshlrev_b32_e32 v197, 3, v197                            // 0000000164CC: 258B8A83
	v_lshrrev_b32_e64 v198, v197, -1                           // 0000000164D0: D11000C6 000183C5
	v_accvgpr_read_b32 v199, a109                              // 0000000164D8: D3D840C7 1800016D
	v_cndmask_b32_e32 v199, 0, v199, vcc                       // 0000000164E0: 018F8E80
	v_and_b32_e32 v199, v199, v198                             // 0000000164E4: 278F8DC7
	v_accvgpr_write_b32 a109, v199                             // 0000000164E8: D3D9406D 180001C7
	v_accvgpr_read_b32 v199, a125                              // 0000000164F0: D3D840C7 1800017D
	v_cndmask_b32_e32 v199, 0, v199, vcc                       // 0000000164F8: 018F8E80
	v_and_b32_e32 v199, v199, v198                             // 0000000164FC: 278F8DC7
	v_accvgpr_write_b32 a125, v199                             // 000000016500: D3D9407D 180001C7
	s_mov_b32 s54, 0xc8                                        // 000000016508: BEB600FF 000000C8
	v_add_i32 v197, s54, v196                                  // 000000016510: D29C00C5 00038836
	v_cmp_lt_i32_e64 vcc, v197, 4                              // 000000016518: D0C1006A 000109C5
	v_min_u32_e32 v197, 4, v197                                // 000000016520: 1D8B8A84
	v_lshlrev_b32_e32 v197, 3, v197                            // 000000016524: 258B8A83
	v_lshrrev_b32_e64 v198, v197, -1                           // 000000016528: D11000C6 000183C5
	v_accvgpr_read_b32 v199, a110                              // 000000016530: D3D840C7 1800016E
	v_cndmask_b32_e32 v199, 0, v199, vcc                       // 000000016538: 018F8E80
	v_and_b32_e32 v199, v199, v198                             // 00000001653C: 278F8DC7
	v_accvgpr_write_b32 a110, v199                             // 000000016540: D3D9406E 180001C7
	v_accvgpr_read_b32 v199, a126                              // 000000016548: D3D840C7 1800017E
	v_cndmask_b32_e32 v199, 0, v199, vcc                       // 000000016550: 018F8E80
	v_and_b32_e32 v199, v199, v198                             // 000000016554: 278F8DC7
	v_accvgpr_write_b32 a126, v199                             // 000000016558: D3D9407E 180001C7
	s_mov_b32 s54, 0xcc                                        // 000000016560: BEB600FF 000000CC
	v_add_i32 v197, s54, v196                                  // 000000016568: D29C00C5 00038836
	v_cmp_lt_i32_e64 vcc, v197, 4                              // 000000016570: D0C1006A 000109C5
	v_min_u32_e32 v197, 4, v197                                // 000000016578: 1D8B8A84
	v_lshlrev_b32_e32 v197, 3, v197                            // 00000001657C: 258B8A83
	v_lshrrev_b32_e64 v198, v197, -1                           // 000000016580: D11000C6 000183C5
	v_accvgpr_read_b32 v199, a111                              // 000000016588: D3D840C7 1800016F
	v_cndmask_b32_e32 v199, 0, v199, vcc                       // 000000016590: 018F8E80
	v_and_b32_e32 v199, v199, v198                             // 000000016594: 278F8DC7
	v_accvgpr_write_b32 a111, v199                             // 000000016598: D3D9406F 180001C7
	v_accvgpr_read_b32 v199, a127                              // 0000000165A0: D3D840C7 1800017F
	v_cndmask_b32_e32 v199, 0, v199, vcc                       // 0000000165A8: 018F8E80
	v_and_b32_e32 v199, v199, v198                             // 0000000165AC: 278F8DC7
	v_accvgpr_write_b32 a127, v199                             // 0000000165B0: D3D9407F 180001C7
	s_waitcnt vmcnt(63) expcnt(7) lgkmcnt(15)                  // 0000000165B8: BF8CCF7F
	v_mfma_f32_16x16x32_fp8_fp8 v[68:71], a[96:97], v[4:5], 0  // 0000000165BC: D3F30044 0A020960
	v_mfma_f32_16x16x32_fp8_fp8 v[72:75], a[112:113], v[4:5], 0// 0000000165C4: D3F30048 0A020970
	v_mfma_f32_16x16x32_fp8_fp8 v[68:71], a[98:99], v[6:7], v[68:71]// 0000000165CC: D3F30044 0D120D62
	buffer_load_dwordx4 a[128:131], v227, s[16:19], 0 offen    // 0000000165D4: E05C1000 808480E3
	v_mfma_f32_16x16x32_fp8_fp8 v[72:75], a[114:115], v[6:7], v[72:75]// 0000000165DC: D3F30048 0D220D72
	s_waitcnt lgkmcnt(14)                                      // 0000000165E4: BF8CCE7F
	v_mfma_f32_16x16x32_fp8_fp8 v[68:71], a[100:101], v[8:9], v[68:71]// 0000000165E8: D3F30044 0D121164
	v_mfma_f32_16x16x32_fp8_fp8 v[72:75], a[116:117], v[8:9], v[72:75]// 0000000165F0: D3F30048 0D221174
	v_mfma_f32_16x16x32_fp8_fp8 v[68:71], a[102:103], v[10:11], v[68:71]// 0000000165F8: D3F30044 0D121566
	buffer_load_dwordx4 a[132:135], v228, s[16:19], 0 offen    // 000000016600: E05C1000 808484E4
	v_mfma_f32_16x16x32_fp8_fp8 v[72:75], a[118:119], v[10:11], v[72:75]// 000000016608: D3F30048 0D221576
	s_waitcnt lgkmcnt(13)                                      // 000000016610: BF8CCD7F
	v_mfma_f32_16x16x32_fp8_fp8 v[68:71], a[104:105], v[12:13], v[68:71]// 000000016614: D3F30044 0D121968
	v_mfma_f32_16x16x32_fp8_fp8 v[72:75], a[120:121], v[12:13], v[72:75]// 00000001661C: D3F30048 0D221978
	v_mfma_f32_16x16x32_fp8_fp8 v[68:71], a[106:107], v[14:15], v[68:71]// 000000016624: D3F30044 0D121D6A
	buffer_load_dwordx4 a[136:139], v229, s[16:19], 0 offen    // 00000001662C: E05C1000 808488E5
	v_mfma_f32_16x16x32_fp8_fp8 v[72:75], a[122:123], v[14:15], v[72:75]// 000000016634: D3F30048 0D221D7A
	s_waitcnt lgkmcnt(12)                                      // 00000001663C: BF8CCC7F
	v_mfma_f32_16x16x32_fp8_fp8 v[68:71], a[108:109], v[16:17], v[68:71]// 000000016640: D3F30044 0D12216C
	v_mfma_f32_16x16x32_fp8_fp8 v[72:75], a[124:125], v[16:17], v[72:75]// 000000016648: D3F30048 0D22217C
	v_mfma_f32_16x16x32_fp8_fp8 v[68:71], a[110:111], v[18:19], v[68:71]// 000000016650: D3F30044 0D12256E
	buffer_load_dwordx4 a[140:143], v230, s[16:19], 0 offen    // 000000016658: E05C1000 80848CE6
	v_mfma_f32_16x16x32_fp8_fp8 v[72:75], a[126:127], v[18:19], v[72:75]// 000000016660: D3F30048 0D22257E
	s_waitcnt lgkmcnt(11)                                      // 000000016668: BF8CCB7F
	v_mfma_f32_16x16x32_fp8_fp8 v[76:79], a[96:97], v[20:21], 0// 00000001666C: D3F3004C 0A022960
	v_mfma_f32_16x16x32_fp8_fp8 v[80:83], a[112:113], v[20:21], 0// 000000016674: D3F30050 0A022970
	v_mfma_f32_16x16x32_fp8_fp8 v[76:79], a[98:99], v[22:23], v[76:79]// 00000001667C: D3F3004C 0D322D62
	buffer_load_dwordx4 a[144:147], v227, s[16:19], 0 offen offset:1024// 000000016684: E05C1400 808490E3
	v_mfma_f32_16x16x32_fp8_fp8 v[80:83], a[114:115], v[22:23], v[80:83]// 00000001668C: D3F30050 0D422D72
	s_waitcnt lgkmcnt(10)                                      // 000000016694: BF8CCA7F
	v_mfma_f32_16x16x32_fp8_fp8 v[76:79], a[100:101], v[24:25], v[76:79]// 000000016698: D3F3004C 0D323164
	v_mfma_f32_16x16x32_fp8_fp8 v[80:83], a[116:117], v[24:25], v[80:83]// 0000000166A0: D3F30050 0D423174
	v_mfma_f32_16x16x32_fp8_fp8 v[76:79], a[102:103], v[26:27], v[76:79]// 0000000166A8: D3F3004C 0D323566
	buffer_load_dwordx4 a[148:151], v228, s[16:19], 0 offen offset:1024// 0000000166B0: E05C1400 808494E4
	v_mfma_f32_16x16x32_fp8_fp8 v[80:83], a[118:119], v[26:27], v[80:83]// 0000000166B8: D3F30050 0D423576
	s_waitcnt lgkmcnt(9)                                       // 0000000166C0: BF8CC97F
	v_mfma_f32_16x16x32_fp8_fp8 v[76:79], a[104:105], v[28:29], v[76:79]// 0000000166C4: D3F3004C 0D323968
	v_mfma_f32_16x16x32_fp8_fp8 v[80:83], a[120:121], v[28:29], v[80:83]// 0000000166CC: D3F30050 0D423978
	v_mfma_f32_16x16x32_fp8_fp8 v[76:79], a[106:107], v[30:31], v[76:79]// 0000000166D4: D3F3004C 0D323D6A
	buffer_load_dwordx4 a[152:155], v229, s[16:19], 0 offen offset:1024// 0000000166DC: E05C1400 808498E5
	v_mfma_f32_16x16x32_fp8_fp8 v[80:83], a[122:123], v[30:31], v[80:83]// 0000000166E4: D3F30050 0D423D7A
	s_waitcnt lgkmcnt(8)                                       // 0000000166EC: BF8CC87F
	v_mfma_f32_16x16x32_fp8_fp8 v[76:79], a[108:109], v[32:33], v[76:79]// 0000000166F0: D3F3004C 0D32416C
	v_mfma_f32_16x16x32_fp8_fp8 v[80:83], a[124:125], v[32:33], v[80:83]// 0000000166F8: D3F30050 0D42417C
	v_mfma_f32_16x16x32_fp8_fp8 v[76:79], a[110:111], v[34:35], v[76:79]// 000000016700: D3F3004C 0D32456E
	buffer_load_dwordx4 a[156:159], v230, s[16:19], 0 offen offset:1024// 000000016708: E05C1400 80849CE6
	v_mfma_f32_16x16x32_fp8_fp8 v[80:83], a[126:127], v[34:35], v[80:83]// 000000016710: D3F30050 0D42457E
	s_waitcnt lgkmcnt(7)                                       // 000000016718: BF8CC77F
	v_mfma_f32_16x16x32_fp8_fp8 v[84:87], a[96:97], v[36:37], 0// 00000001671C: D3F30054 0A024960
	v_mfma_f32_16x16x32_fp8_fp8 v[88:91], a[112:113], v[36:37], 0// 000000016724: D3F30058 0A024970
	v_mfma_f32_16x16x32_fp8_fp8 v[84:87], a[98:99], v[38:39], v[84:87]// 00000001672C: D3F30054 0D524D62
	v_mfma_f32_16x16x32_fp8_fp8 v[88:91], a[114:115], v[38:39], v[88:91]// 000000016734: D3F30058 0D624D72
	s_waitcnt lgkmcnt(6)                                       // 00000001673C: BF8CC67F
	v_mfma_f32_16x16x32_fp8_fp8 v[84:87], a[100:101], v[40:41], v[84:87]// 000000016740: D3F30054 0D525164
	v_mfma_f32_16x16x32_fp8_fp8 v[88:91], a[116:117], v[40:41], v[88:91]// 000000016748: D3F30058 0D625174
	v_mfma_f32_16x16x32_fp8_fp8 v[84:87], a[102:103], v[42:43], v[84:87]// 000000016750: D3F30054 0D525566
	v_mfma_f32_16x16x32_fp8_fp8 v[88:91], a[118:119], v[42:43], v[88:91]// 000000016758: D3F30058 0D625576
	s_waitcnt lgkmcnt(5)                                       // 000000016760: BF8CC57F
	v_mfma_f32_16x16x32_fp8_fp8 v[84:87], a[104:105], v[44:45], v[84:87]// 000000016764: D3F30054 0D525968
	v_mfma_f32_16x16x32_fp8_fp8 v[88:91], a[120:121], v[44:45], v[88:91]// 00000001676C: D3F30058 0D625978
	v_mfma_f32_16x16x32_fp8_fp8 v[84:87], a[106:107], v[46:47], v[84:87]// 000000016774: D3F30054 0D525D6A
	v_mfma_f32_16x16x32_fp8_fp8 v[88:91], a[122:123], v[46:47], v[88:91]// 00000001677C: D3F30058 0D625D7A
	s_waitcnt lgkmcnt(4)                                       // 000000016784: BF8CC47F
	v_mfma_f32_16x16x32_fp8_fp8 v[84:87], a[108:109], v[48:49], v[84:87]// 000000016788: D3F30054 0D52616C
	v_mfma_f32_16x16x32_fp8_fp8 v[88:91], a[124:125], v[48:49], v[88:91]// 000000016790: D3F30058 0D62617C
	v_mfma_f32_16x16x32_fp8_fp8 v[84:87], a[110:111], v[50:51], v[84:87]// 000000016798: D3F30054 0D52656E
	v_mfma_f32_16x16x32_fp8_fp8 v[88:91], a[126:127], v[50:51], v[88:91]// 0000000167A0: D3F30058 0D62657E
	s_waitcnt lgkmcnt(3)                                       // 0000000167A8: BF8CC37F
	v_mfma_f32_16x16x32_fp8_fp8 v[92:95], a[96:97], v[52:53], 0// 0000000167AC: D3F3005C 0A026960
	v_mfma_f32_16x16x32_fp8_fp8 v[96:99], a[112:113], v[52:53], 0// 0000000167B4: D3F30060 0A026970
	v_mfma_f32_16x16x32_fp8_fp8 v[92:95], a[98:99], v[54:55], v[92:95]// 0000000167BC: D3F3005C 0D726D62
	v_mfma_f32_16x16x32_fp8_fp8 v[96:99], a[114:115], v[54:55], v[96:99]// 0000000167C4: D3F30060 0D826D72
	s_waitcnt lgkmcnt(2)                                       // 0000000167CC: BF8CC27F
	v_mfma_f32_16x16x32_fp8_fp8 v[92:95], a[100:101], v[56:57], v[92:95]// 0000000167D0: D3F3005C 0D727164
	v_mfma_f32_16x16x32_fp8_fp8 v[96:99], a[116:117], v[56:57], v[96:99]// 0000000167D8: D3F30060 0D827174
	v_mfma_f32_16x16x32_fp8_fp8 v[92:95], a[102:103], v[58:59], v[92:95]// 0000000167E0: D3F3005C 0D727566
	v_mfma_f32_16x16x32_fp8_fp8 v[96:99], a[118:119], v[58:59], v[96:99]// 0000000167E8: D3F30060 0D827576
	s_waitcnt lgkmcnt(1)                                       // 0000000167F0: BF8CC17F
	v_mfma_f32_16x16x32_fp8_fp8 v[92:95], a[104:105], v[60:61], v[92:95]// 0000000167F4: D3F3005C 0D727968
	v_mfma_f32_16x16x32_fp8_fp8 v[96:99], a[120:121], v[60:61], v[96:99]// 0000000167FC: D3F30060 0D827978
	v_mfma_f32_16x16x32_fp8_fp8 v[92:95], a[106:107], v[62:63], v[92:95]// 000000016804: D3F3005C 0D727D6A
	v_mfma_f32_16x16x32_fp8_fp8 v[96:99], a[122:123], v[62:63], v[96:99]// 00000001680C: D3F30060 0D827D7A
	s_waitcnt lgkmcnt(0)                                       // 000000016814: BF8CC07F
	v_mfma_f32_16x16x32_fp8_fp8 v[92:95], a[108:109], v[64:65], v[92:95]// 000000016818: D3F3005C 0D72816C
	v_mfma_f32_16x16x32_fp8_fp8 v[96:99], a[124:125], v[64:65], v[96:99]// 000000016820: D3F30060 0D82817C
	v_mfma_f32_16x16x32_fp8_fp8 v[92:95], a[110:111], v[66:67], v[92:95]// 000000016828: D3F3005C 0D72856E
	v_mfma_f32_16x16x32_fp8_fp8 v[96:99], a[126:127], v[66:67], v[96:99]// 000000016830: D3F30060 0D82857E
	s_addk_i32 s64, 0x100                                      // 000000016838: B7400100

000000000001683c <label_500F>:
	s_cmp_lt_i32 s64, s62                                      // 00000001683C: BF043E40
	s_cbranch_scc0 label_598E                                  // 000000016840: BF84097D
	s_waitcnt vmcnt(10)                                        // 000000016844: BF8C0F7A
	v_mfma_f32_16x16x32_fp8_fp8 v[4:7], a[64:65], a[0:1], 0    // 000000016848: D3F30004 1A020140
	s_add_u32 s12, s86, s69                                    // 000000016850: 800C4556
	s_addc_u32 s13, s87, 0                                     // 000000016854: 820D8057
	v_mfma_f32_16x16x32_fp8_fp8 v[4:7], a[66:67], a[2:3], v[4:7]// 000000016858: D3F30004 1C120542
	s_add_u32 s16, s88, s70                                    // 000000016860: 80104658
	s_addc_u32 s17, s89, 0                                     // 000000016864: 82118059
	v_mfma_f32_16x16x32_fp8_fp8 v[4:7], a[68:69], a[4:5], v[4:7]// 000000016868: D3F30004 1C120944
	buffer_load_dwordx4 a[32:35], v225, s[12:15], 0 offen      // 000000016870: E05C1000 808320E1
	v_mfma_f32_16x16x32_fp8_fp8 v[4:7], a[70:71], a[6:7], v[4:7]// 000000016878: D3F30004 1C120D46
	s_add_u32 s20, s90, s71                                    // 000000016880: 8014475A
	s_addc_u32 s21, s91, 0                                     // 000000016884: 8215805B
	v_mfma_f32_16x16x32_fp8_fp8 v[8:11], a[72:73], a[0:1], 0   // 000000016888: D3F30008 1A020148
	s_add_u32 s24, s92, s71                                    // 000000016890: 8018475C
	s_addc_u32 s25, s93, 0                                     // 000000016894: 8219805D
	v_mfma_f32_16x16x32_fp8_fp8 v[8:11], a[74:75], a[2:3], v[8:11]// 000000016898: D3F30008 1C22054A
	s_add_u32 s69, s69, 0x1000                                 // 0000000168A0: 8045FF45 00001000
	s_add_u32 s70, s70, 0x8000                                 // 0000000168A8: 8046FF46 00008000
	v_mfma_f32_16x16x32_fp8_fp8 v[8:11], a[76:77], a[4:5], v[8:11]// 0000000168B0: D3F30008 1C22094C
	buffer_load_dwordx4 a[36:39], v226, s[12:15], 0 offen      // 0000000168B8: E05C1000 808324E2
	v_mfma_f32_16x16x32_fp8_fp8 v[8:11], a[78:79], a[6:7], v[8:11]// 0000000168C0: D3F30008 1C220D4E
	s_add_u32 s71, s71, 0x400                                  // 0000000168C8: 8047FF47 00000400
	v_mfma_f32_16x16x32_fp8_fp8 v[12:15], a[80:81], a[0:1], 0  // 0000000168D0: D3F3000C 1A020150
	v_mfma_f32_16x16x32_fp8_fp8 v[12:15], a[82:83], a[2:3], v[12:15]// 0000000168D8: D3F3000C 1C320552
	v_mfma_f32_16x16x32_fp8_fp8 v[12:15], a[84:85], a[4:5], v[12:15]// 0000000168E0: D3F3000C 1C320954
	buffer_load_dwordx4 a[40:43], v225, s[12:15], 0 offen offset:1024// 0000000168E8: E05C1400 808328E1
	v_mfma_f32_16x16x32_fp8_fp8 v[12:15], a[86:87], a[6:7], v[12:15]// 0000000168F0: D3F3000C 1C320D56
	v_mfma_f32_16x16x32_fp8_fp8 v[16:19], a[88:89], a[0:1], 0  // 0000000168F8: D3F30010 1A020158
	v_mfma_f32_16x16x32_fp8_fp8 v[16:19], a[90:91], a[2:3], v[16:19]// 000000016900: D3F30010 1C42055A
	v_mfma_f32_16x16x32_fp8_fp8 v[16:19], a[92:93], a[4:5], v[16:19]// 000000016908: D3F30010 1C42095C
	buffer_load_dwordx4 a[44:47], v226, s[12:15], 0 offen offset:1024// 000000016910: E05C1400 80832CE2
	v_mfma_f32_16x16x32_fp8_fp8 v[16:19], a[94:95], a[6:7], v[16:19]// 000000016918: D3F30010 1C420D5E
	v_mfma_f32_16x16x32_fp8_fp8 v[20:23], a[64:65], a[8:9], 0  // 000000016920: D3F30014 1A021140
	v_mfma_f32_16x16x32_fp8_fp8 v[20:23], a[66:67], a[10:11], v[20:23]// 000000016928: D3F30014 1C521542
	v_mfma_f32_16x16x32_fp8_fp8 v[20:23], a[68:69], a[12:13], v[20:23]// 000000016930: D3F30014 1C521944
	buffer_load_dwordx4 a[48:51], v225, s[12:15], 0 offen offset:2048// 000000016938: E05C1800 808330E1
	v_mfma_f32_16x16x32_fp8_fp8 v[20:23], a[70:71], a[14:15], v[20:23]// 000000016940: D3F30014 1C521D46
	v_mfma_f32_16x16x32_fp8_fp8 v[24:27], a[72:73], a[8:9], 0  // 000000016948: D3F30018 1A021148
	v_mfma_f32_16x16x32_fp8_fp8 v[24:27], a[74:75], a[10:11], v[24:27]// 000000016950: D3F30018 1C62154A
	v_mfma_f32_16x16x32_fp8_fp8 v[24:27], a[76:77], a[12:13], v[24:27]// 000000016958: D3F30018 1C62194C
	buffer_load_dwordx4 a[52:55], v226, s[12:15], 0 offen offset:2048// 000000016960: E05C1800 808334E2
	v_mfma_f32_16x16x32_fp8_fp8 v[24:27], a[78:79], a[14:15], v[24:27]// 000000016968: D3F30018 1C621D4E
	v_mfma_f32_16x16x32_fp8_fp8 v[28:31], a[80:81], a[8:9], 0  // 000000016970: D3F3001C 1A021150
	v_mfma_f32_16x16x32_fp8_fp8 v[28:31], a[82:83], a[10:11], v[28:31]// 000000016978: D3F3001C 1C721552
	v_mfma_f32_16x16x32_fp8_fp8 v[28:31], a[84:85], a[12:13], v[28:31]// 000000016980: D3F3001C 1C721954
	buffer_load_dwordx4 a[56:59], v225, s[12:15], 0 offen offset:3072// 000000016988: E05C1C00 808338E1
	v_mfma_f32_16x16x32_fp8_fp8 v[28:31], a[86:87], a[14:15], v[28:31]// 000000016990: D3F3001C 1C721D56
	v_mfma_f32_16x16x32_fp8_fp8 v[32:35], a[88:89], a[8:9], 0  // 000000016998: D3F30020 1A021158
	v_mfma_f32_16x16x32_fp8_fp8 v[32:35], a[90:91], a[10:11], v[32:35]// 0000000169A0: D3F30020 1C82155A
	v_mfma_f32_16x16x32_fp8_fp8 v[32:35], a[92:93], a[12:13], v[32:35]// 0000000169A8: D3F30020 1C82195C
	buffer_load_dwordx4 a[60:63], v226, s[12:15], 0 offen offset:3072// 0000000169B0: E05C1C00 80833CE2
	v_mfma_f32_16x16x32_fp8_fp8 v[32:35], a[94:95], a[14:15], v[32:35]// 0000000169B8: D3F30020 1C821D5E
	v_mfma_f32_16x16x32_fp8_fp8 v[36:39], a[64:65], a[16:17], 0// 0000000169C0: D3F30024 1A022140
	v_mfma_f32_16x16x32_fp8_fp8 v[36:39], a[66:67], a[18:19], v[36:39]// 0000000169C8: D3F30024 1C922542
	v_mfma_f32_16x16x32_fp8_fp8 v[36:39], a[68:69], a[20:21], v[36:39]// 0000000169D0: D3F30024 1C922944
	v_mfma_f32_16x16x32_fp8_fp8 v[36:39], a[70:71], a[22:23], v[36:39]// 0000000169D8: D3F30024 1C922D46
	v_mfma_f32_16x16x32_fp8_fp8 v[40:43], a[72:73], a[16:17], 0// 0000000169E0: D3F30028 1A022148
	v_mfma_f32_16x16x32_fp8_fp8 v[40:43], a[74:75], a[18:19], v[40:43]// 0000000169E8: D3F30028 1CA2254A
	v_mfma_f32_16x16x32_fp8_fp8 v[40:43], a[76:77], a[20:21], v[40:43]// 0000000169F0: D3F30028 1CA2294C
	v_mfma_f32_16x16x32_fp8_fp8 v[40:43], a[78:79], a[22:23], v[40:43]// 0000000169F8: D3F30028 1CA22D4E
	v_mfma_f32_16x16x32_fp8_fp8 v[44:47], a[80:81], a[16:17], 0// 000000016A00: D3F3002C 1A022150
	v_mfma_f32_16x16x32_fp8_fp8 v[44:47], a[82:83], a[18:19], v[44:47]// 000000016A08: D3F3002C 1CB22552
	v_mfma_f32_16x16x32_fp8_fp8 v[44:47], a[84:85], a[20:21], v[44:47]// 000000016A10: D3F3002C 1CB22954
	v_mfma_f32_16x16x32_fp8_fp8 v[44:47], a[86:87], a[22:23], v[44:47]// 000000016A18: D3F3002C 1CB22D56
	v_mfma_f32_16x16x32_fp8_fp8 v[48:51], a[88:89], a[16:17], 0// 000000016A20: D3F30030 1A022158
	v_mfma_f32_16x16x32_fp8_fp8 v[48:51], a[90:91], a[18:19], v[48:51]// 000000016A28: D3F30030 1CC2255A
	v_mfma_f32_16x16x32_fp8_fp8 v[48:51], a[92:93], a[20:21], v[48:51]// 000000016A30: D3F30030 1CC2295C
	v_mfma_f32_16x16x32_fp8_fp8 v[48:51], a[94:95], a[22:23], v[48:51]// 000000016A38: D3F30030 1CC22D5E
	v_mfma_f32_16x16x32_fp8_fp8 v[52:55], a[64:65], a[24:25], 0// 000000016A40: D3F30034 1A023140
	v_mfma_f32_16x16x32_fp8_fp8 v[52:55], a[66:67], a[26:27], v[52:55]// 000000016A48: D3F30034 1CD23542
	v_mfma_f32_16x16x32_fp8_fp8 v[52:55], a[68:69], a[28:29], v[52:55]// 000000016A50: D3F30034 1CD23944
	v_mfma_f32_16x16x32_fp8_fp8 v[52:55], a[70:71], a[30:31], v[52:55]// 000000016A58: D3F30034 1CD23D46
	v_mfma_f32_16x16x32_fp8_fp8 v[56:59], a[72:73], a[24:25], 0// 000000016A60: D3F30038 1A023148
	v_mfma_f32_16x16x32_fp8_fp8 v[56:59], a[74:75], a[26:27], v[56:59]// 000000016A68: D3F30038 1CE2354A
	v_mfma_f32_16x16x32_fp8_fp8 v[56:59], a[76:77], a[28:29], v[56:59]// 000000016A70: D3F30038 1CE2394C
	v_mfma_f32_16x16x32_fp8_fp8 v[56:59], a[78:79], a[30:31], v[56:59]// 000000016A78: D3F30038 1CE23D4E
	v_mfma_f32_16x16x32_fp8_fp8 v[60:63], a[80:81], a[24:25], 0// 000000016A80: D3F3003C 1A023150
	v_mfma_f32_16x16x32_fp8_fp8 v[60:63], a[82:83], a[26:27], v[60:63]// 000000016A88: D3F3003C 1CF23552
	v_mfma_f32_16x16x32_fp8_fp8 v[60:63], a[84:85], a[28:29], v[60:63]// 000000016A90: D3F3003C 1CF23954
	v_mfma_f32_16x16x32_fp8_fp8 v[60:63], a[86:87], a[30:31], v[60:63]// 000000016A98: D3F3003C 1CF23D56
	v_mfma_f32_16x16x32_fp8_fp8 v[64:67], a[88:89], a[24:25], 0// 000000016AA0: D3F30040 1A023158
	v_mfma_f32_16x16x32_fp8_fp8 v[64:67], a[90:91], a[26:27], v[64:67]// 000000016AA8: D3F30040 1D02355A
	v_mfma_f32_16x16x32_fp8_fp8 v[64:67], a[92:93], a[28:29], v[64:67]// 000000016AB0: D3F30040 1D02395C
	v_mfma_f32_16x16x32_fp8_fp8 v[64:67], a[94:95], a[30:31], v[64:67]// 000000016AB8: D3F30040 1D023D5E
	s_waitcnt vmcnt(16)                                        // 000000016AC0: BF8C4F70
	v_pk_mul_f32 v[4:5], v[132:133], v[4:5]                    // 000000016AC4: D3B14004 18020984
	v_pk_mul_f32 v[6:7], v[132:133], v[6:7]                    // 000000016ACC: D3B14006 18020D84
	v_mul_f32_dpp v4, v141, v4 row_newbcast:0 row_mask:0xf bank_mask:0xf// 000000016AD4: 0A0808FA FF01508D
	v_mul_f32_dpp v5, v141, v5 row_newbcast:1 row_mask:0xf bank_mask:0xf// 000000016ADC: 0A0A0AFA FF01518D
	v_mul_f32_dpp v6, v141, v6 row_newbcast:2 row_mask:0xf bank_mask:0xf// 000000016AE4: 0A0C0CFA FF01528D
	v_mul_f32_dpp v7, v141, v7 row_newbcast:3 row_mask:0xf bank_mask:0xf// 000000016AEC: 0A0E0EFA FF01538D
	v_pk_mul_f32 v[8:9], v[132:133], v[8:9]                    // 000000016AF4: D3B14008 18021184
	v_pk_mul_f32 v[10:11], v[132:133], v[10:11]                // 000000016AFC: D3B1400A 18021584
	v_mul_f32_dpp v8, v141, v8 row_newbcast:4 row_mask:0xf bank_mask:0xf// 000000016B04: 0A1010FA FF01548D
	v_mul_f32_dpp v9, v141, v9 row_newbcast:5 row_mask:0xf bank_mask:0xf// 000000016B0C: 0A1212FA FF01558D
	v_mul_f32_dpp v10, v141, v10 row_newbcast:6 row_mask:0xf bank_mask:0xf// 000000016B14: 0A1414FA FF01568D
	v_mul_f32_dpp v11, v141, v11 row_newbcast:7 row_mask:0xf bank_mask:0xf// 000000016B1C: 0A1616FA FF01578D
	v_pk_mul_f32 v[12:13], v[132:133], v[12:13]                // 000000016B24: D3B1400C 18021984
	v_pk_mul_f32 v[14:15], v[132:133], v[14:15]                // 000000016B2C: D3B1400E 18021D84
	v_mul_f32_dpp v12, v141, v12 row_newbcast:8 row_mask:0xf bank_mask:0xf// 000000016B34: 0A1818FA FF01588D
	v_mul_f32_dpp v13, v141, v13 row_newbcast:9 row_mask:0xf bank_mask:0xf// 000000016B3C: 0A1A1AFA FF01598D
	v_mul_f32_dpp v14, v141, v14 row_newbcast:10 row_mask:0xf bank_mask:0xf// 000000016B44: 0A1C1CFA FF015A8D
	v_mul_f32_dpp v15, v141, v15 row_newbcast:11 row_mask:0xf bank_mask:0xf// 000000016B4C: 0A1E1EFA FF015B8D
	v_pk_mul_f32 v[16:17], v[132:133], v[16:17]                // 000000016B54: D3B14010 18022184
	v_pk_mul_f32 v[18:19], v[132:133], v[18:19]                // 000000016B5C: D3B14012 18022584
	v_mul_f32_dpp v16, v141, v16 row_newbcast:12 row_mask:0xf bank_mask:0xf// 000000016B64: 0A2020FA FF015C8D
	v_mul_f32_dpp v17, v141, v17 row_newbcast:13 row_mask:0xf bank_mask:0xf// 000000016B6C: 0A2222FA FF015D8D
	v_mul_f32_dpp v18, v141, v18 row_newbcast:14 row_mask:0xf bank_mask:0xf// 000000016B74: 0A2424FA FF015E8D
	v_mul_f32_dpp v19, v141, v19 row_newbcast:15 row_mask:0xf bank_mask:0xf// 000000016B7C: 0A2626FA FF015F8D
	v_pk_mul_f32 v[20:21], v[134:135], v[20:21]                // 000000016B84: D3B14014 18022986
	v_pk_mul_f32 v[22:23], v[134:135], v[22:23]                // 000000016B8C: D3B14016 18022D86
	v_mul_f32_dpp v20, v141, v20 row_newbcast:0 row_mask:0xf bank_mask:0xf// 000000016B94: 0A2828FA FF01508D
	v_mul_f32_dpp v21, v141, v21 row_newbcast:1 row_mask:0xf bank_mask:0xf// 000000016B9C: 0A2A2AFA FF01518D
	v_mul_f32_dpp v22, v141, v22 row_newbcast:2 row_mask:0xf bank_mask:0xf// 000000016BA4: 0A2C2CFA FF01528D
	v_mul_f32_dpp v23, v141, v23 row_newbcast:3 row_mask:0xf bank_mask:0xf// 000000016BAC: 0A2E2EFA FF01538D
	v_pk_mul_f32 v[24:25], v[134:135], v[24:25]                // 000000016BB4: D3B14018 18023186
	v_pk_mul_f32 v[26:27], v[134:135], v[26:27]                // 000000016BBC: D3B1401A 18023586
	v_mul_f32_dpp v24, v141, v24 row_newbcast:4 row_mask:0xf bank_mask:0xf// 000000016BC4: 0A3030FA FF01548D
	v_mul_f32_dpp v25, v141, v25 row_newbcast:5 row_mask:0xf bank_mask:0xf// 000000016BCC: 0A3232FA FF01558D
	v_mul_f32_dpp v26, v141, v26 row_newbcast:6 row_mask:0xf bank_mask:0xf// 000000016BD4: 0A3434FA FF01568D
	v_mul_f32_dpp v27, v141, v27 row_newbcast:7 row_mask:0xf bank_mask:0xf// 000000016BDC: 0A3636FA FF01578D
	v_pk_mul_f32 v[28:29], v[134:135], v[28:29]                // 000000016BE4: D3B1401C 18023986
	v_pk_mul_f32 v[30:31], v[134:135], v[30:31]                // 000000016BEC: D3B1401E 18023D86
	v_mul_f32_dpp v28, v141, v28 row_newbcast:8 row_mask:0xf bank_mask:0xf// 000000016BF4: 0A3838FA FF01588D
	v_mul_f32_dpp v29, v141, v29 row_newbcast:9 row_mask:0xf bank_mask:0xf// 000000016BFC: 0A3A3AFA FF01598D
	v_mul_f32_dpp v30, v141, v30 row_newbcast:10 row_mask:0xf bank_mask:0xf// 000000016C04: 0A3C3CFA FF015A8D
	v_mul_f32_dpp v31, v141, v31 row_newbcast:11 row_mask:0xf bank_mask:0xf// 000000016C0C: 0A3E3EFA FF015B8D
	v_pk_mul_f32 v[32:33], v[134:135], v[32:33]                // 000000016C14: D3B14020 18024186
	v_pk_mul_f32 v[34:35], v[134:135], v[34:35]                // 000000016C1C: D3B14022 18024586
	v_mul_f32_dpp v32, v141, v32 row_newbcast:12 row_mask:0xf bank_mask:0xf// 000000016C24: 0A4040FA FF015C8D
	v_mul_f32_dpp v33, v141, v33 row_newbcast:13 row_mask:0xf bank_mask:0xf// 000000016C2C: 0A4242FA FF015D8D
	v_mul_f32_dpp v34, v141, v34 row_newbcast:14 row_mask:0xf bank_mask:0xf// 000000016C34: 0A4444FA FF015E8D
	v_mul_f32_dpp v35, v141, v35 row_newbcast:15 row_mask:0xf bank_mask:0xf// 000000016C3C: 0A4646FA FF015F8D
	v_pk_mul_f32 v[36:37], v[136:137], v[36:37]                // 000000016C44: D3B14024 18024988
	v_pk_mul_f32 v[38:39], v[136:137], v[38:39]                // 000000016C4C: D3B14026 18024D88
	v_mul_f32_dpp v36, v141, v36 row_newbcast:0 row_mask:0xf bank_mask:0xf// 000000016C54: 0A4848FA FF01508D
	v_mul_f32_dpp v37, v141, v37 row_newbcast:1 row_mask:0xf bank_mask:0xf// 000000016C5C: 0A4A4AFA FF01518D
	v_mul_f32_dpp v38, v141, v38 row_newbcast:2 row_mask:0xf bank_mask:0xf// 000000016C64: 0A4C4CFA FF01528D
	v_mul_f32_dpp v39, v141, v39 row_newbcast:3 row_mask:0xf bank_mask:0xf// 000000016C6C: 0A4E4EFA FF01538D
	v_pk_mul_f32 v[40:41], v[136:137], v[40:41]                // 000000016C74: D3B14028 18025188
	v_pk_mul_f32 v[42:43], v[136:137], v[42:43]                // 000000016C7C: D3B1402A 18025588
	v_mul_f32_dpp v40, v141, v40 row_newbcast:4 row_mask:0xf bank_mask:0xf// 000000016C84: 0A5050FA FF01548D
	v_mul_f32_dpp v41, v141, v41 row_newbcast:5 row_mask:0xf bank_mask:0xf// 000000016C8C: 0A5252FA FF01558D
	v_mul_f32_dpp v42, v141, v42 row_newbcast:6 row_mask:0xf bank_mask:0xf// 000000016C94: 0A5454FA FF01568D
	v_mul_f32_dpp v43, v141, v43 row_newbcast:7 row_mask:0xf bank_mask:0xf// 000000016C9C: 0A5656FA FF01578D
	v_pk_mul_f32 v[44:45], v[136:137], v[44:45]                // 000000016CA4: D3B1402C 18025988
	v_pk_mul_f32 v[46:47], v[136:137], v[46:47]                // 000000016CAC: D3B1402E 18025D88
	v_mul_f32_dpp v44, v141, v44 row_newbcast:8 row_mask:0xf bank_mask:0xf// 000000016CB4: 0A5858FA FF01588D
	v_mul_f32_dpp v45, v141, v45 row_newbcast:9 row_mask:0xf bank_mask:0xf// 000000016CBC: 0A5A5AFA FF01598D
	v_mul_f32_dpp v46, v141, v46 row_newbcast:10 row_mask:0xf bank_mask:0xf// 000000016CC4: 0A5C5CFA FF015A8D
	v_mul_f32_dpp v47, v141, v47 row_newbcast:11 row_mask:0xf bank_mask:0xf// 000000016CCC: 0A5E5EFA FF015B8D
	v_pk_mul_f32 v[48:49], v[136:137], v[48:49]                // 000000016CD4: D3B14030 18026188
	v_pk_mul_f32 v[50:51], v[136:137], v[50:51]                // 000000016CDC: D3B14032 18026588
	v_mul_f32_dpp v48, v141, v48 row_newbcast:12 row_mask:0xf bank_mask:0xf// 000000016CE4: 0A6060FA FF015C8D
	v_mul_f32_dpp v49, v141, v49 row_newbcast:13 row_mask:0xf bank_mask:0xf// 000000016CEC: 0A6262FA FF015D8D
	v_mul_f32_dpp v50, v141, v50 row_newbcast:14 row_mask:0xf bank_mask:0xf// 000000016CF4: 0A6464FA FF015E8D
	v_mul_f32_dpp v51, v141, v51 row_newbcast:15 row_mask:0xf bank_mask:0xf// 000000016CFC: 0A6666FA FF015F8D
	v_pk_mul_f32 v[52:53], v[138:139], v[52:53]                // 000000016D04: D3B14034 1802698A
	v_pk_mul_f32 v[54:55], v[138:139], v[54:55]                // 000000016D0C: D3B14036 18026D8A
	v_mul_f32_dpp v52, v141, v52 row_newbcast:0 row_mask:0xf bank_mask:0xf// 000000016D14: 0A6868FA FF01508D
	v_mul_f32_dpp v53, v141, v53 row_newbcast:1 row_mask:0xf bank_mask:0xf// 000000016D1C: 0A6A6AFA FF01518D
	v_mul_f32_dpp v54, v141, v54 row_newbcast:2 row_mask:0xf bank_mask:0xf// 000000016D24: 0A6C6CFA FF01528D
	v_mul_f32_dpp v55, v141, v55 row_newbcast:3 row_mask:0xf bank_mask:0xf// 000000016D2C: 0A6E6EFA FF01538D
	v_pk_mul_f32 v[56:57], v[138:139], v[56:57]                // 000000016D34: D3B14038 1802718A
	v_pk_mul_f32 v[58:59], v[138:139], v[58:59]                // 000000016D3C: D3B1403A 1802758A
	v_mul_f32_dpp v56, v141, v56 row_newbcast:4 row_mask:0xf bank_mask:0xf// 000000016D44: 0A7070FA FF01548D
	v_mul_f32_dpp v57, v141, v57 row_newbcast:5 row_mask:0xf bank_mask:0xf// 000000016D4C: 0A7272FA FF01558D
	v_mul_f32_dpp v58, v141, v58 row_newbcast:6 row_mask:0xf bank_mask:0xf// 000000016D54: 0A7474FA FF01568D
	v_mul_f32_dpp v59, v141, v59 row_newbcast:7 row_mask:0xf bank_mask:0xf// 000000016D5C: 0A7676FA FF01578D
	v_pk_mul_f32 v[60:61], v[138:139], v[60:61]                // 000000016D64: D3B1403C 1802798A
	v_pk_mul_f32 v[62:63], v[138:139], v[62:63]                // 000000016D6C: D3B1403E 18027D8A
	v_mul_f32_dpp v60, v141, v60 row_newbcast:8 row_mask:0xf bank_mask:0xf// 000000016D74: 0A7878FA FF01588D
	v_mul_f32_dpp v61, v141, v61 row_newbcast:9 row_mask:0xf bank_mask:0xf// 000000016D7C: 0A7A7AFA FF01598D
	v_mul_f32_dpp v62, v141, v62 row_newbcast:10 row_mask:0xf bank_mask:0xf// 000000016D84: 0A7C7CFA FF015A8D
	v_mul_f32_dpp v63, v141, v63 row_newbcast:11 row_mask:0xf bank_mask:0xf// 000000016D8C: 0A7E7EFA FF015B8D
	v_pk_mul_f32 v[64:65], v[138:139], v[64:65]                // 000000016D94: D3B14040 1802818A
	v_pk_mul_f32 v[66:67], v[138:139], v[66:67]                // 000000016D9C: D3B14042 1802858A
	v_mul_f32_dpp v64, v141, v64 row_newbcast:12 row_mask:0xf bank_mask:0xf// 000000016DA4: 0A8080FA FF015C8D
	v_mul_f32_dpp v65, v141, v65 row_newbcast:13 row_mask:0xf bank_mask:0xf// 000000016DAC: 0A8282FA FF015D8D
	v_mul_f32_dpp v66, v141, v66 row_newbcast:14 row_mask:0xf bank_mask:0xf// 000000016DB4: 0A8484FA FF015E8D
	v_mul_f32_dpp v67, v141, v67 row_newbcast:15 row_mask:0xf bank_mask:0xf// 000000016DBC: 0A8686FA FF015F8D
	v_add_u32_e32 v196, s64, v215                              // 000000016DC4: 6989AE40
	v_add_u32_e32 v197, 0, v196                                // 000000016DC8: 698B8880
	v_cmp_lt_u32_e64 s[98:99], v197, v211                      // 000000016DCC: D0C90062 0003A7C5
	s_nop 0                                                    // 000000016DD4: BF800000
	v_cndmask_b32_e64 v4, v216, v4, s[98:99]                   // 000000016DD8: D1000004 018A09D8
	v_add_u32_e32 v197, 1, v196                                // 000000016DE0: 698B8881
	v_cmp_lt_u32_e64 s[98:99], v197, v211                      // 000000016DE4: D0C90062 0003A7C5
	s_nop 0                                                    // 000000016DEC: BF800000
	v_cndmask_b32_e64 v5, v216, v5, s[98:99]                   // 000000016DF0: D1000005 018A0BD8
	v_add_u32_e32 v197, 2, v196                                // 000000016DF8: 698B8882
	v_cmp_lt_u32_e64 s[98:99], v197, v211                      // 000000016DFC: D0C90062 0003A7C5
	s_nop 0                                                    // 000000016E04: BF800000
	v_cndmask_b32_e64 v6, v216, v6, s[98:99]                   // 000000016E08: D1000006 018A0DD8
	v_add_u32_e32 v197, 3, v196                                // 000000016E10: 698B8883
	v_cmp_lt_u32_e64 s[98:99], v197, v211                      // 000000016E14: D0C90062 0003A7C5
	s_nop 0                                                    // 000000016E1C: BF800000
	v_cndmask_b32_e64 v7, v216, v7, s[98:99]                   // 000000016E20: D1000007 018A0FD8
	v_add_u32_e32 v197, 64, v196                               // 000000016E28: 698B88C0
	v_cmp_lt_u32_e64 s[98:99], v197, v211                      // 000000016E2C: D0C90062 0003A7C5
	s_nop 0                                                    // 000000016E34: BF800000
	v_cndmask_b32_e64 v8, v216, v8, s[98:99]                   // 000000016E38: D1000008 018A11D8
	v_add_u32_e32 v197, 0x41, v196                             // 000000016E40: 698B88FF 00000041
	v_cmp_lt_u32_e64 s[98:99], v197, v211                      // 000000016E48: D0C90062 0003A7C5
	s_nop 0                                                    // 000000016E50: BF800000
	v_cndmask_b32_e64 v9, v216, v9, s[98:99]                   // 000000016E54: D1000009 018A13D8
	v_add_u32_e32 v197, 0x42, v196                             // 000000016E5C: 698B88FF 00000042
	v_cmp_lt_u32_e64 s[98:99], v197, v211                      // 000000016E64: D0C90062 0003A7C5
	s_nop 0                                                    // 000000016E6C: BF800000
	v_cndmask_b32_e64 v10, v216, v10, s[98:99]                 // 000000016E70: D100000A 018A15D8
	v_add_u32_e32 v197, 0x43, v196                             // 000000016E78: 698B88FF 00000043
	v_cmp_lt_u32_e64 s[98:99], v197, v211                      // 000000016E80: D0C90062 0003A7C5
	s_nop 0                                                    // 000000016E88: BF800000
	v_cndmask_b32_e64 v11, v216, v11, s[98:99]                 // 000000016E8C: D100000B 018A17D8
	v_add_u32_e32 v197, 0x80, v196                             // 000000016E94: 698B88FF 00000080
	v_cmp_lt_u32_e64 s[98:99], v197, v211                      // 000000016E9C: D0C90062 0003A7C5
	s_nop 0                                                    // 000000016EA4: BF800000
	v_cndmask_b32_e64 v12, v216, v12, s[98:99]                 // 000000016EA8: D100000C 018A19D8
	v_add_u32_e32 v197, 0x81, v196                             // 000000016EB0: 698B88FF 00000081
	v_cmp_lt_u32_e64 s[98:99], v197, v211                      // 000000016EB8: D0C90062 0003A7C5
	s_nop 0                                                    // 000000016EC0: BF800000
	v_cndmask_b32_e64 v13, v216, v13, s[98:99]                 // 000000016EC4: D100000D 018A1BD8
	v_add_u32_e32 v197, 0x82, v196                             // 000000016ECC: 698B88FF 00000082
	v_cmp_lt_u32_e64 s[98:99], v197, v211                      // 000000016ED4: D0C90062 0003A7C5
	s_nop 0                                                    // 000000016EDC: BF800000
	v_cndmask_b32_e64 v14, v216, v14, s[98:99]                 // 000000016EE0: D100000E 018A1DD8
	v_add_u32_e32 v197, 0x83, v196                             // 000000016EE8: 698B88FF 00000083
	v_cmp_lt_u32_e64 s[98:99], v197, v211                      // 000000016EF0: D0C90062 0003A7C5
	s_nop 0                                                    // 000000016EF8: BF800000
	v_cndmask_b32_e64 v15, v216, v15, s[98:99]                 // 000000016EFC: D100000F 018A1FD8
	v_add_u32_e32 v197, 0xc0, v196                             // 000000016F04: 698B88FF 000000C0
	v_cmp_lt_u32_e64 s[98:99], v197, v211                      // 000000016F0C: D0C90062 0003A7C5
	s_nop 0                                                    // 000000016F14: BF800000
	v_cndmask_b32_e64 v16, v216, v16, s[98:99]                 // 000000016F18: D1000010 018A21D8
	v_add_u32_e32 v197, 0xc1, v196                             // 000000016F20: 698B88FF 000000C1
	v_cmp_lt_u32_e64 s[98:99], v197, v211                      // 000000016F28: D0C90062 0003A7C5
	s_nop 0                                                    // 000000016F30: BF800000
	v_cndmask_b32_e64 v17, v216, v17, s[98:99]                 // 000000016F34: D1000011 018A23D8
	v_add_u32_e32 v197, 0xc2, v196                             // 000000016F3C: 698B88FF 000000C2
	v_cmp_lt_u32_e64 s[98:99], v197, v211                      // 000000016F44: D0C90062 0003A7C5
	s_nop 0                                                    // 000000016F4C: BF800000
	v_cndmask_b32_e64 v18, v216, v18, s[98:99]                 // 000000016F50: D1000012 018A25D8
	v_add_u32_e32 v197, 0xc3, v196                             // 000000016F58: 698B88FF 000000C3
	v_cmp_lt_u32_e64 s[98:99], v197, v211                      // 000000016F60: D0C90062 0003A7C5
	s_nop 0                                                    // 000000016F68: BF800000
	v_cndmask_b32_e64 v19, v216, v19, s[98:99]                 // 000000016F6C: D1000013 018A27D8
	v_add_u32_e32 v197, 0, v196                                // 000000016F74: 698B8880
	v_cmp_lt_u32_e64 s[98:99], v197, v212                      // 000000016F78: D0C90062 0003A9C5
	s_nop 0                                                    // 000000016F80: BF800000
	v_cndmask_b32_e64 v20, v216, v20, s[98:99]                 // 000000016F84: D1000014 018A29D8
	v_add_u32_e32 v197, 1, v196                                // 000000016F8C: 698B8881
	v_cmp_lt_u32_e64 s[98:99], v197, v212                      // 000000016F90: D0C90062 0003A9C5
	s_nop 0                                                    // 000000016F98: BF800000
	v_cndmask_b32_e64 v21, v216, v21, s[98:99]                 // 000000016F9C: D1000015 018A2BD8
	v_add_u32_e32 v197, 2, v196                                // 000000016FA4: 698B8882
	v_cmp_lt_u32_e64 s[98:99], v197, v212                      // 000000016FA8: D0C90062 0003A9C5
	s_nop 0                                                    // 000000016FB0: BF800000
	v_cndmask_b32_e64 v22, v216, v22, s[98:99]                 // 000000016FB4: D1000016 018A2DD8
	v_add_u32_e32 v197, 3, v196                                // 000000016FBC: 698B8883
	v_cmp_lt_u32_e64 s[98:99], v197, v212                      // 000000016FC0: D0C90062 0003A9C5
	s_nop 0                                                    // 000000016FC8: BF800000
	v_cndmask_b32_e64 v23, v216, v23, s[98:99]                 // 000000016FCC: D1000017 018A2FD8
	v_add_u32_e32 v197, 64, v196                               // 000000016FD4: 698B88C0
	v_cmp_lt_u32_e64 s[98:99], v197, v212                      // 000000016FD8: D0C90062 0003A9C5
	s_nop 0                                                    // 000000016FE0: BF800000
	v_cndmask_b32_e64 v24, v216, v24, s[98:99]                 // 000000016FE4: D1000018 018A31D8
	v_add_u32_e32 v197, 0x41, v196                             // 000000016FEC: 698B88FF 00000041
	v_cmp_lt_u32_e64 s[98:99], v197, v212                      // 000000016FF4: D0C90062 0003A9C5
	s_nop 0                                                    // 000000016FFC: BF800000
	v_cndmask_b32_e64 v25, v216, v25, s[98:99]                 // 000000017000: D1000019 018A33D8
	v_add_u32_e32 v197, 0x42, v196                             // 000000017008: 698B88FF 00000042
	v_cmp_lt_u32_e64 s[98:99], v197, v212                      // 000000017010: D0C90062 0003A9C5
	s_nop 0                                                    // 000000017018: BF800000
	v_cndmask_b32_e64 v26, v216, v26, s[98:99]                 // 00000001701C: D100001A 018A35D8
	v_add_u32_e32 v197, 0x43, v196                             // 000000017024: 698B88FF 00000043
	v_cmp_lt_u32_e64 s[98:99], v197, v212                      // 00000001702C: D0C90062 0003A9C5
	s_nop 0                                                    // 000000017034: BF800000
	v_cndmask_b32_e64 v27, v216, v27, s[98:99]                 // 000000017038: D100001B 018A37D8
	v_add_u32_e32 v197, 0x80, v196                             // 000000017040: 698B88FF 00000080
	v_cmp_lt_u32_e64 s[98:99], v197, v212                      // 000000017048: D0C90062 0003A9C5
	s_nop 0                                                    // 000000017050: BF800000
	v_cndmask_b32_e64 v28, v216, v28, s[98:99]                 // 000000017054: D100001C 018A39D8
	v_add_u32_e32 v197, 0x81, v196                             // 00000001705C: 698B88FF 00000081
	v_cmp_lt_u32_e64 s[98:99], v197, v212                      // 000000017064: D0C90062 0003A9C5
	s_nop 0                                                    // 00000001706C: BF800000
	v_cndmask_b32_e64 v29, v216, v29, s[98:99]                 // 000000017070: D100001D 018A3BD8
	v_add_u32_e32 v197, 0x82, v196                             // 000000017078: 698B88FF 00000082
	v_cmp_lt_u32_e64 s[98:99], v197, v212                      // 000000017080: D0C90062 0003A9C5
	s_nop 0                                                    // 000000017088: BF800000
	v_cndmask_b32_e64 v30, v216, v30, s[98:99]                 // 00000001708C: D100001E 018A3DD8
	v_add_u32_e32 v197, 0x83, v196                             // 000000017094: 698B88FF 00000083
	v_cmp_lt_u32_e64 s[98:99], v197, v212                      // 00000001709C: D0C90062 0003A9C5
	s_nop 0                                                    // 0000000170A4: BF800000
	v_cndmask_b32_e64 v31, v216, v31, s[98:99]                 // 0000000170A8: D100001F 018A3FD8
	v_add_u32_e32 v197, 0xc0, v196                             // 0000000170B0: 698B88FF 000000C0
	v_cmp_lt_u32_e64 s[98:99], v197, v212                      // 0000000170B8: D0C90062 0003A9C5
	s_nop 0                                                    // 0000000170C0: BF800000
	v_cndmask_b32_e64 v32, v216, v32, s[98:99]                 // 0000000170C4: D1000020 018A41D8
	v_add_u32_e32 v197, 0xc1, v196                             // 0000000170CC: 698B88FF 000000C1
	v_cmp_lt_u32_e64 s[98:99], v197, v212                      // 0000000170D4: D0C90062 0003A9C5
	s_nop 0                                                    // 0000000170DC: BF800000
	v_cndmask_b32_e64 v33, v216, v33, s[98:99]                 // 0000000170E0: D1000021 018A43D8
	v_add_u32_e32 v197, 0xc2, v196                             // 0000000170E8: 698B88FF 000000C2
	v_cmp_lt_u32_e64 s[98:99], v197, v212                      // 0000000170F0: D0C90062 0003A9C5
	s_nop 0                                                    // 0000000170F8: BF800000
	v_cndmask_b32_e64 v34, v216, v34, s[98:99]                 // 0000000170FC: D1000022 018A45D8
	v_add_u32_e32 v197, 0xc3, v196                             // 000000017104: 698B88FF 000000C3
	v_cmp_lt_u32_e64 s[98:99], v197, v212                      // 00000001710C: D0C90062 0003A9C5
	s_nop 0                                                    // 000000017114: BF800000
	v_cndmask_b32_e64 v35, v216, v35, s[98:99]                 // 000000017118: D1000023 018A47D8
	v_add_u32_e32 v197, 0, v196                                // 000000017120: 698B8880
	v_cmp_lt_u32_e64 s[98:99], v197, v213                      // 000000017124: D0C90062 0003ABC5
	s_nop 0                                                    // 00000001712C: BF800000
	v_cndmask_b32_e64 v36, v216, v36, s[98:99]                 // 000000017130: D1000024 018A49D8
	v_add_u32_e32 v197, 1, v196                                // 000000017138: 698B8881
	v_cmp_lt_u32_e64 s[98:99], v197, v213                      // 00000001713C: D0C90062 0003ABC5
	s_nop 0                                                    // 000000017144: BF800000
	v_cndmask_b32_e64 v37, v216, v37, s[98:99]                 // 000000017148: D1000025 018A4BD8
	v_add_u32_e32 v197, 2, v196                                // 000000017150: 698B8882
	v_cmp_lt_u32_e64 s[98:99], v197, v213                      // 000000017154: D0C90062 0003ABC5
	s_nop 0                                                    // 00000001715C: BF800000
	v_cndmask_b32_e64 v38, v216, v38, s[98:99]                 // 000000017160: D1000026 018A4DD8
	v_add_u32_e32 v197, 3, v196                                // 000000017168: 698B8883
	v_cmp_lt_u32_e64 s[98:99], v197, v213                      // 00000001716C: D0C90062 0003ABC5
	s_nop 0                                                    // 000000017174: BF800000
	v_cndmask_b32_e64 v39, v216, v39, s[98:99]                 // 000000017178: D1000027 018A4FD8
	v_add_u32_e32 v197, 64, v196                               // 000000017180: 698B88C0
	v_cmp_lt_u32_e64 s[98:99], v197, v213                      // 000000017184: D0C90062 0003ABC5
	s_nop 0                                                    // 00000001718C: BF800000
	v_cndmask_b32_e64 v40, v216, v40, s[98:99]                 // 000000017190: D1000028 018A51D8
	v_add_u32_e32 v197, 0x41, v196                             // 000000017198: 698B88FF 00000041
	v_cmp_lt_u32_e64 s[98:99], v197, v213                      // 0000000171A0: D0C90062 0003ABC5
	s_nop 0                                                    // 0000000171A8: BF800000
	v_cndmask_b32_e64 v41, v216, v41, s[98:99]                 // 0000000171AC: D1000029 018A53D8
	v_add_u32_e32 v197, 0x42, v196                             // 0000000171B4: 698B88FF 00000042
	v_cmp_lt_u32_e64 s[98:99], v197, v213                      // 0000000171BC: D0C90062 0003ABC5
	s_nop 0                                                    // 0000000171C4: BF800000
	v_cndmask_b32_e64 v42, v216, v42, s[98:99]                 // 0000000171C8: D100002A 018A55D8
	v_add_u32_e32 v197, 0x43, v196                             // 0000000171D0: 698B88FF 00000043
	v_cmp_lt_u32_e64 s[98:99], v197, v213                      // 0000000171D8: D0C90062 0003ABC5
	s_nop 0                                                    // 0000000171E0: BF800000
	v_cndmask_b32_e64 v43, v216, v43, s[98:99]                 // 0000000171E4: D100002B 018A57D8
	v_add_u32_e32 v197, 0x80, v196                             // 0000000171EC: 698B88FF 00000080
	v_cmp_lt_u32_e64 s[98:99], v197, v213                      // 0000000171F4: D0C90062 0003ABC5
	s_nop 0                                                    // 0000000171FC: BF800000
	v_cndmask_b32_e64 v44, v216, v44, s[98:99]                 // 000000017200: D100002C 018A59D8
	v_add_u32_e32 v197, 0x81, v196                             // 000000017208: 698B88FF 00000081
	v_cmp_lt_u32_e64 s[98:99], v197, v213                      // 000000017210: D0C90062 0003ABC5
	s_nop 0                                                    // 000000017218: BF800000
	v_cndmask_b32_e64 v45, v216, v45, s[98:99]                 // 00000001721C: D100002D 018A5BD8
	v_add_u32_e32 v197, 0x82, v196                             // 000000017224: 698B88FF 00000082
	v_cmp_lt_u32_e64 s[98:99], v197, v213                      // 00000001722C: D0C90062 0003ABC5
	s_nop 0                                                    // 000000017234: BF800000
	v_cndmask_b32_e64 v46, v216, v46, s[98:99]                 // 000000017238: D100002E 018A5DD8
	v_add_u32_e32 v197, 0x83, v196                             // 000000017240: 698B88FF 00000083
	v_cmp_lt_u32_e64 s[98:99], v197, v213                      // 000000017248: D0C90062 0003ABC5
	s_nop 0                                                    // 000000017250: BF800000
	v_cndmask_b32_e64 v47, v216, v47, s[98:99]                 // 000000017254: D100002F 018A5FD8
	v_add_u32_e32 v197, 0xc0, v196                             // 00000001725C: 698B88FF 000000C0
	v_cmp_lt_u32_e64 s[98:99], v197, v213                      // 000000017264: D0C90062 0003ABC5
	s_nop 0                                                    // 00000001726C: BF800000
	v_cndmask_b32_e64 v48, v216, v48, s[98:99]                 // 000000017270: D1000030 018A61D8
	v_add_u32_e32 v197, 0xc1, v196                             // 000000017278: 698B88FF 000000C1
	v_cmp_lt_u32_e64 s[98:99], v197, v213                      // 000000017280: D0C90062 0003ABC5
	s_nop 0                                                    // 000000017288: BF800000
	v_cndmask_b32_e64 v49, v216, v49, s[98:99]                 // 00000001728C: D1000031 018A63D8
	v_add_u32_e32 v197, 0xc2, v196                             // 000000017294: 698B88FF 000000C2
	v_cmp_lt_u32_e64 s[98:99], v197, v213                      // 00000001729C: D0C90062 0003ABC5
	s_nop 0                                                    // 0000000172A4: BF800000
	v_cndmask_b32_e64 v50, v216, v50, s[98:99]                 // 0000000172A8: D1000032 018A65D8
	v_add_u32_e32 v197, 0xc3, v196                             // 0000000172B0: 698B88FF 000000C3
	v_cmp_lt_u32_e64 s[98:99], v197, v213                      // 0000000172B8: D0C90062 0003ABC5
	s_nop 0                                                    // 0000000172C0: BF800000
	v_cndmask_b32_e64 v51, v216, v51, s[98:99]                 // 0000000172C4: D1000033 018A67D8
	v_add_u32_e32 v197, 0, v196                                // 0000000172CC: 698B8880
	v_cmp_lt_u32_e64 s[98:99], v197, v214                      // 0000000172D0: D0C90062 0003ADC5
	s_nop 0                                                    // 0000000172D8: BF800000
	v_cndmask_b32_e64 v52, v216, v52, s[98:99]                 // 0000000172DC: D1000034 018A69D8
	v_add_u32_e32 v197, 1, v196                                // 0000000172E4: 698B8881
	v_cmp_lt_u32_e64 s[98:99], v197, v214                      // 0000000172E8: D0C90062 0003ADC5
	s_nop 0                                                    // 0000000172F0: BF800000
	v_cndmask_b32_e64 v53, v216, v53, s[98:99]                 // 0000000172F4: D1000035 018A6BD8
	v_add_u32_e32 v197, 2, v196                                // 0000000172FC: 698B8882
	v_cmp_lt_u32_e64 s[98:99], v197, v214                      // 000000017300: D0C90062 0003ADC5
	s_nop 0                                                    // 000000017308: BF800000
	v_cndmask_b32_e64 v54, v216, v54, s[98:99]                 // 00000001730C: D1000036 018A6DD8
	v_add_u32_e32 v197, 3, v196                                // 000000017314: 698B8883
	v_cmp_lt_u32_e64 s[98:99], v197, v214                      // 000000017318: D0C90062 0003ADC5
	s_nop 0                                                    // 000000017320: BF800000
	v_cndmask_b32_e64 v55, v216, v55, s[98:99]                 // 000000017324: D1000037 018A6FD8
	v_add_u32_e32 v197, 64, v196                               // 00000001732C: 698B88C0
	v_cmp_lt_u32_e64 s[98:99], v197, v214                      // 000000017330: D0C90062 0003ADC5
	s_nop 0                                                    // 000000017338: BF800000
	v_cndmask_b32_e64 v56, v216, v56, s[98:99]                 // 00000001733C: D1000038 018A71D8
	v_add_u32_e32 v197, 0x41, v196                             // 000000017344: 698B88FF 00000041
	v_cmp_lt_u32_e64 s[98:99], v197, v214                      // 00000001734C: D0C90062 0003ADC5
	s_nop 0                                                    // 000000017354: BF800000
	v_cndmask_b32_e64 v57, v216, v57, s[98:99]                 // 000000017358: D1000039 018A73D8
	v_add_u32_e32 v197, 0x42, v196                             // 000000017360: 698B88FF 00000042
	v_cmp_lt_u32_e64 s[98:99], v197, v214                      // 000000017368: D0C90062 0003ADC5
	s_nop 0                                                    // 000000017370: BF800000
	v_cndmask_b32_e64 v58, v216, v58, s[98:99]                 // 000000017374: D100003A 018A75D8
	v_add_u32_e32 v197, 0x43, v196                             // 00000001737C: 698B88FF 00000043
	v_cmp_lt_u32_e64 s[98:99], v197, v214                      // 000000017384: D0C90062 0003ADC5
	s_nop 0                                                    // 00000001738C: BF800000
	v_cndmask_b32_e64 v59, v216, v59, s[98:99]                 // 000000017390: D100003B 018A77D8
	v_add_u32_e32 v197, 0x80, v196                             // 000000017398: 698B88FF 00000080
	v_cmp_lt_u32_e64 s[98:99], v197, v214                      // 0000000173A0: D0C90062 0003ADC5
	s_nop 0                                                    // 0000000173A8: BF800000
	v_cndmask_b32_e64 v60, v216, v60, s[98:99]                 // 0000000173AC: D100003C 018A79D8
	v_add_u32_e32 v197, 0x81, v196                             // 0000000173B4: 698B88FF 00000081
	v_cmp_lt_u32_e64 s[98:99], v197, v214                      // 0000000173BC: D0C90062 0003ADC5
	s_nop 0                                                    // 0000000173C4: BF800000
	v_cndmask_b32_e64 v61, v216, v61, s[98:99]                 // 0000000173C8: D100003D 018A7BD8
	v_add_u32_e32 v197, 0x82, v196                             // 0000000173D0: 698B88FF 00000082
	v_cmp_lt_u32_e64 s[98:99], v197, v214                      // 0000000173D8: D0C90062 0003ADC5
	s_nop 0                                                    // 0000000173E0: BF800000
	v_cndmask_b32_e64 v62, v216, v62, s[98:99]                 // 0000000173E4: D100003E 018A7DD8
	v_add_u32_e32 v197, 0x83, v196                             // 0000000173EC: 698B88FF 00000083
	v_cmp_lt_u32_e64 s[98:99], v197, v214                      // 0000000173F4: D0C90062 0003ADC5
	s_nop 0                                                    // 0000000173FC: BF800000
	v_cndmask_b32_e64 v63, v216, v63, s[98:99]                 // 000000017400: D100003F 018A7FD8
	v_add_u32_e32 v197, 0xc0, v196                             // 000000017408: 698B88FF 000000C0
	v_cmp_lt_u32_e64 s[98:99], v197, v214                      // 000000017410: D0C90062 0003ADC5
	s_nop 0                                                    // 000000017418: BF800000
	v_cndmask_b32_e64 v64, v216, v64, s[98:99]                 // 00000001741C: D1000040 018A81D8
	v_add_u32_e32 v197, 0xc1, v196                             // 000000017424: 698B88FF 000000C1
	v_cmp_lt_u32_e64 s[98:99], v197, v214                      // 00000001742C: D0C90062 0003ADC5
	s_nop 0                                                    // 000000017434: BF800000
	v_cndmask_b32_e64 v65, v216, v65, s[98:99]                 // 000000017438: D1000041 018A83D8
	v_add_u32_e32 v197, 0xc2, v196                             // 000000017440: 698B88FF 000000C2
	v_cmp_lt_u32_e64 s[98:99], v197, v214                      // 000000017448: D0C90062 0003ADC5
	s_nop 0                                                    // 000000017450: BF800000
	v_cndmask_b32_e64 v66, v216, v66, s[98:99]                 // 000000017454: D1000042 018A85D8
	v_add_u32_e32 v197, 0xc3, v196                             // 00000001745C: 698B88FF 000000C3
	v_cmp_lt_u32_e64 s[98:99], v197, v214                      // 000000017464: D0C90062 0003ADC5
	s_nop 0                                                    // 00000001746C: BF800000
	v_cndmask_b32_e64 v67, v216, v67, s[98:99]                 // 000000017470: D1000043 018A87D8
	v_mov_b32_e32 v176, v4                                     // 000000017478: 7F600304
	v_max3_f32 v176, v4, v5, v176                              // 00000001747C: D1D300B0 06C20B04
	v_max3_f32 v176, v6, v7, v176                              // 000000017484: D1D300B0 06C20F06
	v_max3_f32 v176, v8, v9, v176                              // 00000001748C: D1D300B0 06C21308
	v_max3_f32 v176, v10, v11, v176                            // 000000017494: D1D300B0 06C2170A
	v_max3_f32 v176, v12, v13, v176                            // 00000001749C: D1D300B0 06C21B0C
	v_max3_f32 v176, v14, v15, v176                            // 0000000174A4: D1D300B0 06C21F0E
	v_max3_f32 v176, v16, v17, v176                            // 0000000174AC: D1D300B0 06C22310
	v_max3_f32 v176, v18, v19, v176                            // 0000000174B4: D1D300B0 06C22712
	v_mov_b32_e32 v177, v20                                    // 0000000174BC: 7F620314
	v_max3_f32 v177, v20, v21, v177                            // 0000000174C0: D1D300B1 06C62B14
	v_max3_f32 v177, v22, v23, v177                            // 0000000174C8: D1D300B1 06C62F16
	v_max3_f32 v177, v24, v25, v177                            // 0000000174D0: D1D300B1 06C63318
	v_max3_f32 v177, v26, v27, v177                            // 0000000174D8: D1D300B1 06C6371A
	v_max3_f32 v177, v28, v29, v177                            // 0000000174E0: D1D300B1 06C63B1C
	v_max3_f32 v177, v30, v31, v177                            // 0000000174E8: D1D300B1 06C63F1E
	v_max3_f32 v177, v32, v33, v177                            // 0000000174F0: D1D300B1 06C64320
	v_max3_f32 v177, v34, v35, v177                            // 0000000174F8: D1D300B1 06C64722
	v_mov_b32_e32 v178, v36                                    // 000000017500: 7F640324
	v_max3_f32 v178, v36, v37, v178                            // 000000017504: D1D300B2 06CA4B24
	v_max3_f32 v178, v38, v39, v178                            // 00000001750C: D1D300B2 06CA4F26
	v_max3_f32 v178, v40, v41, v178                            // 000000017514: D1D300B2 06CA5328
	v_max3_f32 v178, v42, v43, v178                            // 00000001751C: D1D300B2 06CA572A
	v_max3_f32 v178, v44, v45, v178                            // 000000017524: D1D300B2 06CA5B2C
	v_max3_f32 v178, v46, v47, v178                            // 00000001752C: D1D300B2 06CA5F2E
	v_max3_f32 v178, v48, v49, v178                            // 000000017534: D1D300B2 06CA6330
	v_max3_f32 v178, v50, v51, v178                            // 00000001753C: D1D300B2 06CA6732
	v_mov_b32_e32 v179, v52                                    // 000000017544: 7F660334
	v_max3_f32 v179, v52, v53, v179                            // 000000017548: D1D300B3 06CE6B34
	v_max3_f32 v179, v54, v55, v179                            // 000000017550: D1D300B3 06CE6F36
	v_max3_f32 v179, v56, v57, v179                            // 000000017558: D1D300B3 06CE7338
	v_max3_f32 v179, v58, v59, v179                            // 000000017560: D1D300B3 06CE773A
	v_max3_f32 v179, v60, v61, v179                            // 000000017568: D1D300B3 06CE7B3C
	v_max3_f32 v179, v62, v63, v179                            // 000000017570: D1D300B3 06CE7F3E
	v_max3_f32 v179, v64, v65, v179                            // 000000017578: D1D300B3 06CE8340
	v_max3_f32 v179, v66, v67, v179                            // 000000017580: D1D300B3 06CE8742
	ds_bpermute_b32 v180, v200, v176                           // 000000017588: D87E0000 B400B0C8
	ds_bpermute_b32 v181, v201, v176                           // 000000017590: D87E0000 B500B0C9
	ds_bpermute_b32 v182, v202, v176                           // 000000017598: D87E0000 B600B0CA
	ds_bpermute_b32 v183, v200, v177                           // 0000000175A0: D87E0000 B700B1C8
	ds_bpermute_b32 v184, v201, v177                           // 0000000175A8: D87E0000 B800B1C9
	ds_bpermute_b32 v185, v202, v177                           // 0000000175B0: D87E0000 B900B1CA
	ds_bpermute_b32 v186, v200, v178                           // 0000000175B8: D87E0000 BA00B2C8
	ds_bpermute_b32 v187, v201, v178                           // 0000000175C0: D87E0000 BB00B2C9
	ds_bpermute_b32 v188, v202, v178                           // 0000000175C8: D87E0000 BC00B2CA
	ds_bpermute_b32 v189, v200, v179                           // 0000000175D0: D87E0000 BD00B3C8
	ds_bpermute_b32 v190, v201, v179                           // 0000000175D8: D87E0000 BE00B3C9
	ds_bpermute_b32 v191, v202, v179                           // 0000000175E0: D87E0000 BF00B3CA
	v_pk_mul_f32 v[100:101], v[160:161], v[100:101]            // 0000000175E8: D3B14064 1802C9A0
	v_pk_mul_f32 v[102:103], v[160:161], v[102:103]            // 0000000175F0: D3B14066 1802CDA0
	v_pk_mul_f32 v[104:105], v[160:161], v[104:105]            // 0000000175F8: D3B14068 1802D1A0
	v_pk_mul_f32 v[106:107], v[160:161], v[106:107]            // 000000017600: D3B1406A 1802D5A0
	v_pk_mul_f32 v[108:109], v[162:163], v[108:109]            // 000000017608: D3B1406C 1802D9A2
	v_pk_mul_f32 v[110:111], v[162:163], v[110:111]            // 000000017610: D3B1406E 1802DDA2
	v_pk_mul_f32 v[112:113], v[162:163], v[112:113]            // 000000017618: D3B14070 1802E1A2
	v_pk_mul_f32 v[114:115], v[162:163], v[114:115]            // 000000017620: D3B14072 1802E5A2
	v_pk_mul_f32 v[116:117], v[164:165], v[116:117]            // 000000017628: D3B14074 1802E9A4
	v_pk_mul_f32 v[118:119], v[164:165], v[118:119]            // 000000017630: D3B14076 1802EDA4
	v_pk_mul_f32 v[120:121], v[164:165], v[120:121]            // 000000017638: D3B14078 1802F1A4
	v_pk_mul_f32 v[122:123], v[164:165], v[122:123]            // 000000017640: D3B1407A 1802F5A4
	v_pk_mul_f32 v[124:125], v[166:167], v[124:125]            // 000000017648: D3B1407C 1802F9A6
	v_pk_mul_f32 v[126:127], v[166:167], v[126:127]            // 000000017650: D3B1407E 1802FDA6
	v_pk_mul_f32 v[128:129], v[166:167], v[128:129]            // 000000017658: D3B14080 180301A6
	v_pk_mul_f32 v[130:131], v[166:167], v[130:131]            // 000000017660: D3B14082 180305A6
	s_waitcnt lgkmcnt(9)                                       // 000000017668: BF8CC97F
	v_max3_f32 v176, v180, v181, v176                          // 00000001766C: D1D300B0 06C36BB4
	v_max_f32_e32 v176, v182, v176                             // 000000017674: 176161B6
	s_waitcnt lgkmcnt(6)                                       // 000000017678: BF8CC67F
	v_max3_f32 v177, v183, v184, v177                          // 00000001767C: D1D300B1 06C771B7
	v_max_f32_e32 v177, v185, v177                             // 000000017684: 176363B9
	s_waitcnt lgkmcnt(3)                                       // 000000017688: BF8CC37F
	v_max3_f32 v178, v186, v187, v178                          // 00000001768C: D1D300B2 06CB77BA
	v_max_f32_e32 v178, v188, v178                             // 000000017694: 176565BC
	s_waitcnt lgkmcnt(0)                                       // 000000017698: BF8CC07F
	v_max3_f32 v179, v189, v190, v179                          // 00000001769C: D1D300B3 06CF7DBD
	v_max_f32_e32 v179, v191, v179                             // 0000000176A4: 176767BF
	ds_write_b128 v247, v[176:179]                             // 0000000176A8: D9BE0000 0000B0F7
	s_waitcnt lgkmcnt(0)                                       // 0000000176B0: BF8CC07F
	s_barrier                                                  // 0000000176B4: BF8A0000
	ds_read_b128 v[180:183], v248                              // 0000000176B8: D9FE0000 B40000F8
	ds_read_b128 v[184:187], v248 offset:256                   // 0000000176C0: D9FE0100 B80000F8
	ds_read_b128 v[188:191], v248 offset:512                   // 0000000176C8: D9FE0200 BC0000F8
	ds_read_b128 v[192:195], v248 offset:768                   // 0000000176D0: D9FE0300 C00000F8
	v_pk_mul_f32 v[68:69], v[144:145], v[68:69]                // 0000000176D8: D3B14044 18028990
	v_pk_mul_f32 v[70:71], v[144:145], v[70:71]                // 0000000176E0: D3B14046 18028D90
	v_pk_mul_f32 v[72:73], v[144:145], v[72:73]                // 0000000176E8: D3B14048 18029190
	v_pk_mul_f32 v[74:75], v[144:145], v[74:75]                // 0000000176F0: D3B1404A 18029590
	v_pk_mul_f32 v[76:77], v[146:147], v[76:77]                // 0000000176F8: D3B1404C 18029992
	v_pk_mul_f32 v[78:79], v[146:147], v[78:79]                // 000000017700: D3B1404E 18029D92
	v_pk_mul_f32 v[80:81], v[146:147], v[80:81]                // 000000017708: D3B14050 1802A192
	v_pk_mul_f32 v[82:83], v[146:147], v[82:83]                // 000000017710: D3B14052 1802A592
	v_pk_mul_f32 v[84:85], v[148:149], v[84:85]                // 000000017718: D3B14054 1802A994
	v_pk_mul_f32 v[86:87], v[148:149], v[86:87]                // 000000017720: D3B14056 1802AD94
	v_pk_mul_f32 v[88:89], v[148:149], v[88:89]                // 000000017728: D3B14058 1802B194
	v_pk_mul_f32 v[90:91], v[148:149], v[90:91]                // 000000017730: D3B1405A 1802B594
	v_pk_mul_f32 v[92:93], v[150:151], v[92:93]                // 000000017738: D3B1405C 1802B996
	v_pk_mul_f32 v[94:95], v[150:151], v[94:95]                // 000000017740: D3B1405E 1802BD96
	v_pk_mul_f32 v[96:97], v[150:151], v[96:97]                // 000000017748: D3B14060 1802C196
	v_pk_mul_f32 v[98:99], v[150:151], v[98:99]                // 000000017750: D3B14062 1802C596
	s_waitcnt lgkmcnt(0)                                       // 000000017758: BF8CC07F
	v_max3_f32 v176, v180, v184, v176                          // 00000001775C: D1D300B0 06C371B4
	v_max3_f32 v177, v181, v185, v177                          // 000000017764: D1D300B1 06C773B5
	v_max3_f32 v178, v182, v186, v178                          // 00000001776C: D1D300B2 06CB75B6
	v_max3_f32 v179, v183, v187, v179                          // 000000017774: D1D300B3 06CF77B7
	v_max3_f32 v176, v188, v192, v176                          // 00000001777C: D1D300B0 06C381BC
	v_max3_f32 v177, v189, v193, v177                          // 000000017784: D1D300B1 06C783BD
	v_max3_f32 v178, v190, v194, v178                          // 00000001778C: D1D300B2 06CB85BE
	v_max3_f32 v179, v191, v195, v179                          // 000000017794: D1D300B3 06CF87BF
	v_max_f32_e32 v156, v176, v152                             // 00000001779C: 173931B0
	v_mul_f32_e64 v196, -s46, v156                             // 0000000177A0: D10500C4 2003382E
	v_mov_b32_e32 v197, v196                                   // 0000000177A8: 7F8A03C4
	v_pk_fma_f32 v[4:5], v[4:5], s[46:47], v[196:197]          // 0000000177AC: D3B04004 1F105D04
	v_pk_fma_f32 v[6:7], v[6:7], s[46:47], v[196:197]          // 0000000177B4: D3B04006 1F105D06
	v_exp_f32_e32 v4, v4                                       // 0000000177BC: 7E084104
	v_exp_f32_e32 v5, v5                                       // 0000000177C0: 7E0A4105
	v_exp_f32_e32 v6, v6                                       // 0000000177C4: 7E0C4106
	v_exp_f32_e32 v7, v7                                       // 0000000177C8: 7E0E4107
	v_pk_fma_f32 v[8:9], v[8:9], s[46:47], v[196:197]          // 0000000177CC: D3B04008 1F105D08
	v_pk_fma_f32 v[10:11], v[10:11], s[46:47], v[196:197]      // 0000000177D4: D3B0400A 1F105D0A
	v_exp_f32_e32 v8, v8                                       // 0000000177DC: 7E104108
	v_exp_f32_e32 v9, v9                                       // 0000000177E0: 7E124109
	v_exp_f32_e32 v10, v10                                     // 0000000177E4: 7E14410A
	v_exp_f32_e32 v11, v11                                     // 0000000177E8: 7E16410B
	v_pk_fma_f32 v[12:13], v[12:13], s[46:47], v[196:197]      // 0000000177EC: D3B0400C 1F105D0C
	v_pk_fma_f32 v[14:15], v[14:15], s[46:47], v[196:197]      // 0000000177F4: D3B0400E 1F105D0E
	v_exp_f32_e32 v12, v12                                     // 0000000177FC: 7E18410C
	v_exp_f32_e32 v13, v13                                     // 000000017800: 7E1A410D
	v_exp_f32_e32 v14, v14                                     // 000000017804: 7E1C410E
	v_exp_f32_e32 v15, v15                                     // 000000017808: 7E1E410F
	v_pk_fma_f32 v[16:17], v[16:17], s[46:47], v[196:197]      // 00000001780C: D3B04010 1F105D10
	v_pk_fma_f32 v[18:19], v[18:19], s[46:47], v[196:197]      // 000000017814: D3B04012 1F105D12
	v_exp_f32_e32 v16, v16                                     // 00000001781C: 7E204110
	v_exp_f32_e32 v17, v17                                     // 000000017820: 7E224111
	v_exp_f32_e32 v18, v18                                     // 000000017824: 7E244112
	v_exp_f32_e32 v19, v19                                     // 000000017828: 7E264113
	v_max_f32_e32 v157, v177, v153                             // 00000001782C: 173B33B1
	v_mul_f32_e64 v196, -s46, v157                             // 000000017830: D10500C4 20033A2E
	v_mov_b32_e32 v197, v196                                   // 000000017838: 7F8A03C4
	v_pk_fma_f32 v[20:21], v[20:21], s[46:47], v[196:197]      // 00000001783C: D3B04014 1F105D14
	v_pk_fma_f32 v[22:23], v[22:23], s[46:47], v[196:197]      // 000000017844: D3B04016 1F105D16
	v_exp_f32_e32 v20, v20                                     // 00000001784C: 7E284114
	v_exp_f32_e32 v21, v21                                     // 000000017850: 7E2A4115
	v_exp_f32_e32 v22, v22                                     // 000000017854: 7E2C4116
	v_exp_f32_e32 v23, v23                                     // 000000017858: 7E2E4117
	v_pk_fma_f32 v[24:25], v[24:25], s[46:47], v[196:197]      // 00000001785C: D3B04018 1F105D18
	v_pk_fma_f32 v[26:27], v[26:27], s[46:47], v[196:197]      // 000000017864: D3B0401A 1F105D1A
	v_exp_f32_e32 v24, v24                                     // 00000001786C: 7E304118
	v_exp_f32_e32 v25, v25                                     // 000000017870: 7E324119
	v_exp_f32_e32 v26, v26                                     // 000000017874: 7E34411A
	v_exp_f32_e32 v27, v27                                     // 000000017878: 7E36411B
	v_pk_fma_f32 v[28:29], v[28:29], s[46:47], v[196:197]      // 00000001787C: D3B0401C 1F105D1C
	v_pk_fma_f32 v[30:31], v[30:31], s[46:47], v[196:197]      // 000000017884: D3B0401E 1F105D1E
	v_exp_f32_e32 v28, v28                                     // 00000001788C: 7E38411C
	v_exp_f32_e32 v29, v29                                     // 000000017890: 7E3A411D
	v_exp_f32_e32 v30, v30                                     // 000000017894: 7E3C411E
	v_exp_f32_e32 v31, v31                                     // 000000017898: 7E3E411F
	v_pk_fma_f32 v[32:33], v[32:33], s[46:47], v[196:197]      // 00000001789C: D3B04020 1F105D20
	v_pk_fma_f32 v[34:35], v[34:35], s[46:47], v[196:197]      // 0000000178A4: D3B04022 1F105D22
	v_exp_f32_e32 v32, v32                                     // 0000000178AC: 7E404120
	v_exp_f32_e32 v33, v33                                     // 0000000178B0: 7E424121
	v_exp_f32_e32 v34, v34                                     // 0000000178B4: 7E444122
	v_exp_f32_e32 v35, v35                                     // 0000000178B8: 7E464123
	v_max_f32_e32 v158, v178, v154                             // 0000000178BC: 173D35B2
	v_mul_f32_e64 v196, -s46, v158                             // 0000000178C0: D10500C4 20033C2E
	v_mov_b32_e32 v197, v196                                   // 0000000178C8: 7F8A03C4
	v_pk_fma_f32 v[36:37], v[36:37], s[46:47], v[196:197]      // 0000000178CC: D3B04024 1F105D24
	v_pk_fma_f32 v[38:39], v[38:39], s[46:47], v[196:197]      // 0000000178D4: D3B04026 1F105D26
	v_exp_f32_e32 v36, v36                                     // 0000000178DC: 7E484124
	v_exp_f32_e32 v37, v37                                     // 0000000178E0: 7E4A4125
	v_exp_f32_e32 v38, v38                                     // 0000000178E4: 7E4C4126
	v_exp_f32_e32 v39, v39                                     // 0000000178E8: 7E4E4127
	v_pk_fma_f32 v[40:41], v[40:41], s[46:47], v[196:197]      // 0000000178EC: D3B04028 1F105D28
	v_pk_fma_f32 v[42:43], v[42:43], s[46:47], v[196:197]      // 0000000178F4: D3B0402A 1F105D2A
	v_exp_f32_e32 v40, v40                                     // 0000000178FC: 7E504128
	v_exp_f32_e32 v41, v41                                     // 000000017900: 7E524129
	v_exp_f32_e32 v42, v42                                     // 000000017904: 7E54412A
	v_exp_f32_e32 v43, v43                                     // 000000017908: 7E56412B
	v_pk_fma_f32 v[44:45], v[44:45], s[46:47], v[196:197]      // 00000001790C: D3B0402C 1F105D2C
	v_pk_fma_f32 v[46:47], v[46:47], s[46:47], v[196:197]      // 000000017914: D3B0402E 1F105D2E
	v_exp_f32_e32 v44, v44                                     // 00000001791C: 7E58412C
	v_exp_f32_e32 v45, v45                                     // 000000017920: 7E5A412D
	v_exp_f32_e32 v46, v46                                     // 000000017924: 7E5C412E
	v_exp_f32_e32 v47, v47                                     // 000000017928: 7E5E412F
	v_pk_fma_f32 v[48:49], v[48:49], s[46:47], v[196:197]      // 00000001792C: D3B04030 1F105D30
	v_pk_fma_f32 v[50:51], v[50:51], s[46:47], v[196:197]      // 000000017934: D3B04032 1F105D32
	v_exp_f32_e32 v48, v48                                     // 00000001793C: 7E604130
	v_exp_f32_e32 v49, v49                                     // 000000017940: 7E624131
	v_exp_f32_e32 v50, v50                                     // 000000017944: 7E644132
	v_exp_f32_e32 v51, v51                                     // 000000017948: 7E664133
	v_max_f32_e32 v159, v179, v155                             // 00000001794C: 173F37B3
	v_mul_f32_e64 v196, -s46, v159                             // 000000017950: D10500C4 20033E2E
	v_mov_b32_e32 v197, v196                                   // 000000017958: 7F8A03C4
	v_pk_fma_f32 v[52:53], v[52:53], s[46:47], v[196:197]      // 00000001795C: D3B04034 1F105D34
	v_pk_fma_f32 v[54:55], v[54:55], s[46:47], v[196:197]      // 000000017964: D3B04036 1F105D36
	v_exp_f32_e32 v52, v52                                     // 00000001796C: 7E684134
	v_exp_f32_e32 v53, v53                                     // 000000017970: 7E6A4135
	v_exp_f32_e32 v54, v54                                     // 000000017974: 7E6C4136
	v_exp_f32_e32 v55, v55                                     // 000000017978: 7E6E4137
	v_pk_fma_f32 v[56:57], v[56:57], s[46:47], v[196:197]      // 00000001797C: D3B04038 1F105D38
	v_pk_fma_f32 v[58:59], v[58:59], s[46:47], v[196:197]      // 000000017984: D3B0403A 1F105D3A
	v_exp_f32_e32 v56, v56                                     // 00000001798C: 7E704138
	v_exp_f32_e32 v57, v57                                     // 000000017990: 7E724139
	v_exp_f32_e32 v58, v58                                     // 000000017994: 7E74413A
	v_exp_f32_e32 v59, v59                                     // 000000017998: 7E76413B
	v_pk_fma_f32 v[60:61], v[60:61], s[46:47], v[196:197]      // 00000001799C: D3B0403C 1F105D3C
	v_pk_fma_f32 v[62:63], v[62:63], s[46:47], v[196:197]      // 0000000179A4: D3B0403E 1F105D3E
	v_exp_f32_e32 v60, v60                                     // 0000000179AC: 7E78413C
	v_exp_f32_e32 v61, v61                                     // 0000000179B0: 7E7A413D
	v_exp_f32_e32 v62, v62                                     // 0000000179B4: 7E7C413E
	v_exp_f32_e32 v63, v63                                     // 0000000179B8: 7E7E413F
	v_pk_fma_f32 v[64:65], v[64:65], s[46:47], v[196:197]      // 0000000179BC: D3B04040 1F105D40
	v_pk_fma_f32 v[66:67], v[66:67], s[46:47], v[196:197]      // 0000000179C4: D3B04042 1F105D42
	v_exp_f32_e32 v64, v64                                     // 0000000179CC: 7E804140
	v_exp_f32_e32 v65, v65                                     // 0000000179D0: 7E824141
	v_exp_f32_e32 v66, v66                                     // 0000000179D4: 7E844142
	v_exp_f32_e32 v67, v67                                     // 0000000179D8: 7E864143
	v_sub_f32_e32 v160, v152, v156                             // 0000000179DC: 05413998
	v_cmp_eq_u32_e64 s[98:99], v216, v152                      // 0000000179E0: D0CA0062 000331D8
	v_cndmask_b32_e64 v160, v160, 0, s[98:99]                  // 0000000179E8: D10000A0 018901A0
	v_mov_b32_e32 v152, v156                                   // 0000000179F0: 7F30039C
	v_mul_f32_e32 v160, s46, v160                              // 0000000179F4: 0B41402E
	v_exp_f32_e32 v160, v160                                   // 0000000179F8: 7F4041A0
	v_sub_f32_e32 v162, v153, v157                             // 0000000179FC: 05453B99
	v_cmp_eq_u32_e64 s[98:99], v216, v153                      // 000000017A00: D0CA0062 000333D8
	v_cndmask_b32_e64 v162, v162, 0, s[98:99]                  // 000000017A08: D10000A2 018901A2
	v_mov_b32_e32 v153, v157                                   // 000000017A10: 7F32039D
	v_mul_f32_e32 v162, s46, v162                              // 000000017A14: 0B45442E
	v_exp_f32_e32 v162, v162                                   // 000000017A18: 7F4441A2
	v_sub_f32_e32 v164, v154, v158                             // 000000017A1C: 05493D9A
	v_cmp_eq_u32_e64 s[98:99], v216, v154                      // 000000017A20: D0CA0062 000335D8
	v_cndmask_b32_e64 v164, v164, 0, s[98:99]                  // 000000017A28: D10000A4 018901A4
	v_mov_b32_e32 v154, v158                                   // 000000017A30: 7F34039E
	v_mul_f32_e32 v164, s46, v164                              // 000000017A34: 0B49482E
	v_exp_f32_e32 v164, v164                                   // 000000017A38: 7F4841A4
	v_sub_f32_e32 v166, v155, v159                             // 000000017A3C: 054D3F9B
	v_cmp_eq_u32_e64 s[98:99], v216, v155                      // 000000017A40: D0CA0062 000337D8
	v_cndmask_b32_e64 v166, v166, 0, s[98:99]                  // 000000017A48: D10000A6 018901A6
	v_mov_b32_e32 v155, v159                                   // 000000017A50: 7F36039F
	v_mul_f32_e32 v166, s46, v166                              // 000000017A54: 0B4D4C2E
	v_exp_f32_e32 v166, v166                                   // 000000017A58: 7F4C41A6
	v_mov_b32_e32 v161, v160                                   // 000000017A5C: 7F4203A0
	v_mov_b32_e32 v163, v162                                   // 000000017A60: 7F4603A2
	v_mov_b32_e32 v165, v164                                   // 000000017A64: 7F4A03A4
	v_mov_b32_e32 v167, v166                                   // 000000017A68: 7F4E03A6
	v_mul_f32_e32 v168, v160, v168                             // 000000017A6C: 0B5151A0
	v_mov_b32_e32 v169, 0                                      // 000000017A70: 7F520280
	v_pk_add_f32 v[168:169], v[4:5], v[168:169]                // 000000017A74: D3B240A8 18035104
	v_pk_add_f32 v[168:169], v[6:7], v[168:169]                // 000000017A7C: D3B240A8 18035106
	v_pk_add_f32 v[168:169], v[8:9], v[168:169]                // 000000017A84: D3B240A8 18035108
	v_pk_add_f32 v[168:169], v[10:11], v[168:169]              // 000000017A8C: D3B240A8 1803510A
	v_pk_add_f32 v[168:169], v[12:13], v[168:169]              // 000000017A94: D3B240A8 1803510C
	v_pk_add_f32 v[168:169], v[14:15], v[168:169]              // 000000017A9C: D3B240A8 1803510E
	v_pk_add_f32 v[168:169], v[16:17], v[168:169]              // 000000017AA4: D3B240A8 18035110
	v_pk_add_f32 v[168:169], v[18:19], v[168:169]              // 000000017AAC: D3B240A8 18035112
	v_add_f32_e32 v168, v169, v168                             // 000000017AB4: 035151A9
	v_mul_f32_e32 v170, v162, v170                             // 000000017AB8: 0B5555A2
	v_mov_b32_e32 v171, 0                                      // 000000017ABC: 7F560280
	v_pk_add_f32 v[170:171], v[20:21], v[170:171]              // 000000017AC0: D3B240AA 18035514
	v_pk_add_f32 v[170:171], v[22:23], v[170:171]              // 000000017AC8: D3B240AA 18035516
	v_pk_add_f32 v[170:171], v[24:25], v[170:171]              // 000000017AD0: D3B240AA 18035518
	v_pk_add_f32 v[170:171], v[26:27], v[170:171]              // 000000017AD8: D3B240AA 1803551A
	v_pk_add_f32 v[170:171], v[28:29], v[170:171]              // 000000017AE0: D3B240AA 1803551C
	v_pk_add_f32 v[170:171], v[30:31], v[170:171]              // 000000017AE8: D3B240AA 1803551E
	v_pk_add_f32 v[170:171], v[32:33], v[170:171]              // 000000017AF0: D3B240AA 18035520
	v_pk_add_f32 v[170:171], v[34:35], v[170:171]              // 000000017AF8: D3B240AA 18035522
	v_add_f32_e32 v170, v171, v170                             // 000000017B00: 035555AB
	v_mul_f32_e32 v172, v164, v172                             // 000000017B04: 0B5959A4
	v_mov_b32_e32 v173, 0                                      // 000000017B08: 7F5A0280
	v_pk_add_f32 v[172:173], v[36:37], v[172:173]              // 000000017B0C: D3B240AC 18035924
	v_pk_add_f32 v[172:173], v[38:39], v[172:173]              // 000000017B14: D3B240AC 18035926
	v_pk_add_f32 v[172:173], v[40:41], v[172:173]              // 000000017B1C: D3B240AC 18035928
	v_pk_add_f32 v[172:173], v[42:43], v[172:173]              // 000000017B24: D3B240AC 1803592A
	v_pk_add_f32 v[172:173], v[44:45], v[172:173]              // 000000017B2C: D3B240AC 1803592C
	v_pk_add_f32 v[172:173], v[46:47], v[172:173]              // 000000017B34: D3B240AC 1803592E
	v_pk_add_f32 v[172:173], v[48:49], v[172:173]              // 000000017B3C: D3B240AC 18035930
	v_pk_add_f32 v[172:173], v[50:51], v[172:173]              // 000000017B44: D3B240AC 18035932
	v_add_f32_e32 v172, v173, v172                             // 000000017B4C: 035959AD
	v_mul_f32_e32 v174, v166, v174                             // 000000017B50: 0B5D5DA6
	v_mov_b32_e32 v175, 0                                      // 000000017B54: 7F5E0280
	v_pk_add_f32 v[174:175], v[52:53], v[174:175]              // 000000017B58: D3B240AE 18035D34
	v_pk_add_f32 v[174:175], v[54:55], v[174:175]              // 000000017B60: D3B240AE 18035D36
	v_pk_add_f32 v[174:175], v[56:57], v[174:175]              // 000000017B68: D3B240AE 18035D38
	v_pk_add_f32 v[174:175], v[58:59], v[174:175]              // 000000017B70: D3B240AE 18035D3A
	v_pk_add_f32 v[174:175], v[60:61], v[174:175]              // 000000017B78: D3B240AE 18035D3C
	v_pk_add_f32 v[174:175], v[62:63], v[174:175]              // 000000017B80: D3B240AE 18035D3E
	v_pk_add_f32 v[174:175], v[64:65], v[174:175]              // 000000017B88: D3B240AE 18035D40
	v_pk_add_f32 v[174:175], v[66:67], v[174:175]              // 000000017B90: D3B240AE 18035D42
	v_add_f32_e32 v174, v175, v174                             // 000000017B98: 035D5DAF
	v_mul_f32_dpp v4, v143, v4 row_newbcast:0 row_mask:0xf bank_mask:0xf// 000000017B9C: 0A0808FA FF01508F
	v_mul_f32_dpp v5, v143, v5 row_newbcast:1 row_mask:0xf bank_mask:0xf// 000000017BA4: 0A0A0AFA FF01518F
	v_mul_f32_dpp v6, v143, v6 row_newbcast:2 row_mask:0xf bank_mask:0xf// 000000017BAC: 0A0C0CFA FF01528F
	v_mul_f32_dpp v7, v143, v7 row_newbcast:3 row_mask:0xf bank_mask:0xf// 000000017BB4: 0A0E0EFA FF01538F
	v_mul_f32_dpp v8, v143, v8 row_newbcast:4 row_mask:0xf bank_mask:0xf// 000000017BBC: 0A1010FA FF01548F
	v_mul_f32_dpp v9, v143, v9 row_newbcast:5 row_mask:0xf bank_mask:0xf// 000000017BC4: 0A1212FA FF01558F
	v_mul_f32_dpp v10, v143, v10 row_newbcast:6 row_mask:0xf bank_mask:0xf// 000000017BCC: 0A1414FA FF01568F
	v_mul_f32_dpp v11, v143, v11 row_newbcast:7 row_mask:0xf bank_mask:0xf// 000000017BD4: 0A1616FA FF01578F
	v_mul_f32_dpp v12, v143, v12 row_newbcast:8 row_mask:0xf bank_mask:0xf// 000000017BDC: 0A1818FA FF01588F
	v_mul_f32_dpp v13, v143, v13 row_newbcast:9 row_mask:0xf bank_mask:0xf// 000000017BE4: 0A1A1AFA FF01598F
	v_mul_f32_dpp v14, v143, v14 row_newbcast:10 row_mask:0xf bank_mask:0xf// 000000017BEC: 0A1C1CFA FF015A8F
	v_mul_f32_dpp v15, v143, v15 row_newbcast:11 row_mask:0xf bank_mask:0xf// 000000017BF4: 0A1E1EFA FF015B8F
	v_mul_f32_dpp v16, v143, v16 row_newbcast:12 row_mask:0xf bank_mask:0xf// 000000017BFC: 0A2020FA FF015C8F
	v_mul_f32_dpp v17, v143, v17 row_newbcast:13 row_mask:0xf bank_mask:0xf// 000000017C04: 0A2222FA FF015D8F
	v_mul_f32_dpp v18, v143, v18 row_newbcast:14 row_mask:0xf bank_mask:0xf// 000000017C0C: 0A2424FA FF015E8F
	v_mul_f32_dpp v19, v143, v19 row_newbcast:15 row_mask:0xf bank_mask:0xf// 000000017C14: 0A2626FA FF015F8F
	v_mul_f32_dpp v20, v143, v20 row_newbcast:0 row_mask:0xf bank_mask:0xf// 000000017C1C: 0A2828FA FF01508F
	v_mul_f32_dpp v21, v143, v21 row_newbcast:1 row_mask:0xf bank_mask:0xf// 000000017C24: 0A2A2AFA FF01518F
	v_mul_f32_dpp v22, v143, v22 row_newbcast:2 row_mask:0xf bank_mask:0xf// 000000017C2C: 0A2C2CFA FF01528F
	v_mul_f32_dpp v23, v143, v23 row_newbcast:3 row_mask:0xf bank_mask:0xf// 000000017C34: 0A2E2EFA FF01538F
	v_mul_f32_dpp v24, v143, v24 row_newbcast:4 row_mask:0xf bank_mask:0xf// 000000017C3C: 0A3030FA FF01548F
	v_mul_f32_dpp v25, v143, v25 row_newbcast:5 row_mask:0xf bank_mask:0xf// 000000017C44: 0A3232FA FF01558F
	v_mul_f32_dpp v26, v143, v26 row_newbcast:6 row_mask:0xf bank_mask:0xf// 000000017C4C: 0A3434FA FF01568F
	v_mul_f32_dpp v27, v143, v27 row_newbcast:7 row_mask:0xf bank_mask:0xf// 000000017C54: 0A3636FA FF01578F
	v_mul_f32_dpp v28, v143, v28 row_newbcast:8 row_mask:0xf bank_mask:0xf// 000000017C5C: 0A3838FA FF01588F
	v_mul_f32_dpp v29, v143, v29 row_newbcast:9 row_mask:0xf bank_mask:0xf// 000000017C64: 0A3A3AFA FF01598F
	v_mul_f32_dpp v30, v143, v30 row_newbcast:10 row_mask:0xf bank_mask:0xf// 000000017C6C: 0A3C3CFA FF015A8F
	v_mul_f32_dpp v31, v143, v31 row_newbcast:11 row_mask:0xf bank_mask:0xf// 000000017C74: 0A3E3EFA FF015B8F
	v_mul_f32_dpp v32, v143, v32 row_newbcast:12 row_mask:0xf bank_mask:0xf// 000000017C7C: 0A4040FA FF015C8F
	v_mul_f32_dpp v33, v143, v33 row_newbcast:13 row_mask:0xf bank_mask:0xf// 000000017C84: 0A4242FA FF015D8F
	v_mul_f32_dpp v34, v143, v34 row_newbcast:14 row_mask:0xf bank_mask:0xf// 000000017C8C: 0A4444FA FF015E8F
	v_mul_f32_dpp v35, v143, v35 row_newbcast:15 row_mask:0xf bank_mask:0xf// 000000017C94: 0A4646FA FF015F8F
	v_mul_f32_dpp v36, v143, v36 row_newbcast:0 row_mask:0xf bank_mask:0xf// 000000017C9C: 0A4848FA FF01508F
	v_mul_f32_dpp v37, v143, v37 row_newbcast:1 row_mask:0xf bank_mask:0xf// 000000017CA4: 0A4A4AFA FF01518F
	v_mul_f32_dpp v38, v143, v38 row_newbcast:2 row_mask:0xf bank_mask:0xf// 000000017CAC: 0A4C4CFA FF01528F
	v_mul_f32_dpp v39, v143, v39 row_newbcast:3 row_mask:0xf bank_mask:0xf// 000000017CB4: 0A4E4EFA FF01538F
	v_mul_f32_dpp v40, v143, v40 row_newbcast:4 row_mask:0xf bank_mask:0xf// 000000017CBC: 0A5050FA FF01548F
	v_mul_f32_dpp v41, v143, v41 row_newbcast:5 row_mask:0xf bank_mask:0xf// 000000017CC4: 0A5252FA FF01558F
	v_mul_f32_dpp v42, v143, v42 row_newbcast:6 row_mask:0xf bank_mask:0xf// 000000017CCC: 0A5454FA FF01568F
	v_mul_f32_dpp v43, v143, v43 row_newbcast:7 row_mask:0xf bank_mask:0xf// 000000017CD4: 0A5656FA FF01578F
	v_mul_f32_dpp v44, v143, v44 row_newbcast:8 row_mask:0xf bank_mask:0xf// 000000017CDC: 0A5858FA FF01588F
	v_mul_f32_dpp v45, v143, v45 row_newbcast:9 row_mask:0xf bank_mask:0xf// 000000017CE4: 0A5A5AFA FF01598F
	v_mul_f32_dpp v46, v143, v46 row_newbcast:10 row_mask:0xf bank_mask:0xf// 000000017CEC: 0A5C5CFA FF015A8F
	v_mul_f32_dpp v47, v143, v47 row_newbcast:11 row_mask:0xf bank_mask:0xf// 000000017CF4: 0A5E5EFA FF015B8F
	v_mul_f32_dpp v48, v143, v48 row_newbcast:12 row_mask:0xf bank_mask:0xf// 000000017CFC: 0A6060FA FF015C8F
	v_mul_f32_dpp v49, v143, v49 row_newbcast:13 row_mask:0xf bank_mask:0xf// 000000017D04: 0A6262FA FF015D8F
	v_mul_f32_dpp v50, v143, v50 row_newbcast:14 row_mask:0xf bank_mask:0xf// 000000017D0C: 0A6464FA FF015E8F
	v_mul_f32_dpp v51, v143, v51 row_newbcast:15 row_mask:0xf bank_mask:0xf// 000000017D14: 0A6666FA FF015F8F
	v_mul_f32_dpp v52, v143, v52 row_newbcast:0 row_mask:0xf bank_mask:0xf// 000000017D1C: 0A6868FA FF01508F
	v_mul_f32_dpp v53, v143, v53 row_newbcast:1 row_mask:0xf bank_mask:0xf// 000000017D24: 0A6A6AFA FF01518F
	v_mul_f32_dpp v54, v143, v54 row_newbcast:2 row_mask:0xf bank_mask:0xf// 000000017D2C: 0A6C6CFA FF01528F
	v_mul_f32_dpp v55, v143, v55 row_newbcast:3 row_mask:0xf bank_mask:0xf// 000000017D34: 0A6E6EFA FF01538F
	v_mul_f32_dpp v56, v143, v56 row_newbcast:4 row_mask:0xf bank_mask:0xf// 000000017D3C: 0A7070FA FF01548F
	v_mul_f32_dpp v57, v143, v57 row_newbcast:5 row_mask:0xf bank_mask:0xf// 000000017D44: 0A7272FA FF01558F
	v_mul_f32_dpp v58, v143, v58 row_newbcast:6 row_mask:0xf bank_mask:0xf// 000000017D4C: 0A7474FA FF01568F
	v_mul_f32_dpp v59, v143, v59 row_newbcast:7 row_mask:0xf bank_mask:0xf// 000000017D54: 0A7676FA FF01578F
	v_mul_f32_dpp v60, v143, v60 row_newbcast:8 row_mask:0xf bank_mask:0xf// 000000017D5C: 0A7878FA FF01588F
	v_mul_f32_dpp v61, v143, v61 row_newbcast:9 row_mask:0xf bank_mask:0xf// 000000017D64: 0A7A7AFA FF01598F
	v_mul_f32_dpp v62, v143, v62 row_newbcast:10 row_mask:0xf bank_mask:0xf// 000000017D6C: 0A7C7CFA FF015A8F
	v_mul_f32_dpp v63, v143, v63 row_newbcast:11 row_mask:0xf bank_mask:0xf// 000000017D74: 0A7E7EFA FF015B8F
	v_mul_f32_dpp v64, v143, v64 row_newbcast:12 row_mask:0xf bank_mask:0xf// 000000017D7C: 0A8080FA FF015C8F
	v_mul_f32_dpp v65, v143, v65 row_newbcast:13 row_mask:0xf bank_mask:0xf// 000000017D84: 0A8282FA FF015D8F
	v_mul_f32_dpp v66, v143, v66 row_newbcast:14 row_mask:0xf bank_mask:0xf// 000000017D8C: 0A8484FA FF015E8F
	v_mul_f32_dpp v67, v143, v67 row_newbcast:15 row_mask:0xf bank_mask:0xf// 000000017D94: 0A8686FA FF015F8F
	v_add_u32_e32 v196, s64, v215                              // 000000017D9C: 6989AE40
	v_add_u32_e32 v197, 0, v196                                // 000000017DA0: 698B8880
	v_cmp_lt_u32_e32 vcc, v197, v211                           // 000000017DA4: 7D93A7C5
	v_cndmask_b32_e32 v4, 0, v4, vcc                           // 000000017DA8: 00080880
	v_cmp_lt_u32_e32 vcc, v197, v212                           // 000000017DAC: 7D93A9C5
	v_cndmask_b32_e32 v20, 0, v20, vcc                         // 000000017DB0: 00282880
	v_cmp_lt_u32_e32 vcc, v197, v213                           // 000000017DB4: 7D93ABC5
	v_cndmask_b32_e32 v36, 0, v36, vcc                         // 000000017DB8: 00484880
	v_cmp_lt_u32_e32 vcc, v197, v214                           // 000000017DBC: 7D93ADC5
	v_cndmask_b32_e32 v52, 0, v52, vcc                         // 000000017DC0: 00686880
	v_add_u32_e32 v197, 1, v196                                // 000000017DC4: 698B8881
	v_cmp_lt_u32_e32 vcc, v197, v211                           // 000000017DC8: 7D93A7C5
	v_cndmask_b32_e32 v5, 0, v5, vcc                           // 000000017DCC: 000A0A80
	v_cmp_lt_u32_e32 vcc, v197, v212                           // 000000017DD0: 7D93A9C5
	v_cndmask_b32_e32 v21, 0, v21, vcc                         // 000000017DD4: 002A2A80
	v_cmp_lt_u32_e32 vcc, v197, v213                           // 000000017DD8: 7D93ABC5
	v_cndmask_b32_e32 v37, 0, v37, vcc                         // 000000017DDC: 004A4A80
	v_cmp_lt_u32_e32 vcc, v197, v214                           // 000000017DE0: 7D93ADC5
	v_cndmask_b32_e32 v53, 0, v53, vcc                         // 000000017DE4: 006A6A80
	v_add_u32_e32 v197, 2, v196                                // 000000017DE8: 698B8882
	v_cmp_lt_u32_e32 vcc, v197, v211                           // 000000017DEC: 7D93A7C5
	v_cndmask_b32_e32 v6, 0, v6, vcc                           // 000000017DF0: 000C0C80
	v_cmp_lt_u32_e32 vcc, v197, v212                           // 000000017DF4: 7D93A9C5
	v_cndmask_b32_e32 v22, 0, v22, vcc                         // 000000017DF8: 002C2C80
	v_cmp_lt_u32_e32 vcc, v197, v213                           // 000000017DFC: 7D93ABC5
	v_cndmask_b32_e32 v38, 0, v38, vcc                         // 000000017E00: 004C4C80
	v_cmp_lt_u32_e32 vcc, v197, v214                           // 000000017E04: 7D93ADC5
	v_cndmask_b32_e32 v54, 0, v54, vcc                         // 000000017E08: 006C6C80
	v_add_u32_e32 v197, 3, v196                                // 000000017E0C: 698B8883
	v_cmp_lt_u32_e32 vcc, v197, v211                           // 000000017E10: 7D93A7C5
	v_cndmask_b32_e32 v7, 0, v7, vcc                           // 000000017E14: 000E0E80
	v_cmp_lt_u32_e32 vcc, v197, v212                           // 000000017E18: 7D93A9C5
	v_cndmask_b32_e32 v23, 0, v23, vcc                         // 000000017E1C: 002E2E80
	v_cmp_lt_u32_e32 vcc, v197, v213                           // 000000017E20: 7D93ABC5
	v_cndmask_b32_e32 v39, 0, v39, vcc                         // 000000017E24: 004E4E80
	v_cmp_lt_u32_e32 vcc, v197, v214                           // 000000017E28: 7D93ADC5
	v_cndmask_b32_e32 v55, 0, v55, vcc                         // 000000017E2C: 006E6E80
	v_add_u32_e32 v197, 64, v196                               // 000000017E30: 698B88C0
	v_cmp_lt_u32_e32 vcc, v197, v211                           // 000000017E34: 7D93A7C5
	v_cndmask_b32_e32 v8, 0, v8, vcc                           // 000000017E38: 00101080
	v_cmp_lt_u32_e32 vcc, v197, v212                           // 000000017E3C: 7D93A9C5
	v_cndmask_b32_e32 v24, 0, v24, vcc                         // 000000017E40: 00303080
	v_cmp_lt_u32_e32 vcc, v197, v213                           // 000000017E44: 7D93ABC5
	v_cndmask_b32_e32 v40, 0, v40, vcc                         // 000000017E48: 00505080
	v_cmp_lt_u32_e32 vcc, v197, v214                           // 000000017E4C: 7D93ADC5
	v_cndmask_b32_e32 v56, 0, v56, vcc                         // 000000017E50: 00707080
	v_add_u32_e32 v197, 0x41, v196                             // 000000017E54: 698B88FF 00000041
	v_cmp_lt_u32_e32 vcc, v197, v211                           // 000000017E5C: 7D93A7C5
	v_cndmask_b32_e32 v9, 0, v9, vcc                           // 000000017E60: 00121280
	v_cmp_lt_u32_e32 vcc, v197, v212                           // 000000017E64: 7D93A9C5
	v_cndmask_b32_e32 v25, 0, v25, vcc                         // 000000017E68: 00323280
	v_cmp_lt_u32_e32 vcc, v197, v213                           // 000000017E6C: 7D93ABC5
	v_cndmask_b32_e32 v41, 0, v41, vcc                         // 000000017E70: 00525280
	v_cmp_lt_u32_e32 vcc, v197, v214                           // 000000017E74: 7D93ADC5
	v_cndmask_b32_e32 v57, 0, v57, vcc                         // 000000017E78: 00727280
	v_add_u32_e32 v197, 0x42, v196                             // 000000017E7C: 698B88FF 00000042
	v_cmp_lt_u32_e32 vcc, v197, v211                           // 000000017E84: 7D93A7C5
	v_cndmask_b32_e32 v10, 0, v10, vcc                         // 000000017E88: 00141480
	v_cmp_lt_u32_e32 vcc, v197, v212                           // 000000017E8C: 7D93A9C5
	v_cndmask_b32_e32 v26, 0, v26, vcc                         // 000000017E90: 00343480
	v_cmp_lt_u32_e32 vcc, v197, v213                           // 000000017E94: 7D93ABC5
	v_cndmask_b32_e32 v42, 0, v42, vcc                         // 000000017E98: 00545480
	v_cmp_lt_u32_e32 vcc, v197, v214                           // 000000017E9C: 7D93ADC5
	v_cndmask_b32_e32 v58, 0, v58, vcc                         // 000000017EA0: 00747480
	v_add_u32_e32 v197, 0x43, v196                             // 000000017EA4: 698B88FF 00000043
	v_cmp_lt_u32_e32 vcc, v197, v211                           // 000000017EAC: 7D93A7C5
	v_cndmask_b32_e32 v11, 0, v11, vcc                         // 000000017EB0: 00161680
	v_cmp_lt_u32_e32 vcc, v197, v212                           // 000000017EB4: 7D93A9C5
	v_cndmask_b32_e32 v27, 0, v27, vcc                         // 000000017EB8: 00363680
	v_cmp_lt_u32_e32 vcc, v197, v213                           // 000000017EBC: 7D93ABC5
	v_cndmask_b32_e32 v43, 0, v43, vcc                         // 000000017EC0: 00565680
	v_cmp_lt_u32_e32 vcc, v197, v214                           // 000000017EC4: 7D93ADC5
	v_cndmask_b32_e32 v59, 0, v59, vcc                         // 000000017EC8: 00767680
	v_add_u32_e32 v197, 0x80, v196                             // 000000017ECC: 698B88FF 00000080
	v_cmp_lt_u32_e32 vcc, v197, v211                           // 000000017ED4: 7D93A7C5
	v_cndmask_b32_e32 v12, 0, v12, vcc                         // 000000017ED8: 00181880
	v_cmp_lt_u32_e32 vcc, v197, v212                           // 000000017EDC: 7D93A9C5
	v_cndmask_b32_e32 v28, 0, v28, vcc                         // 000000017EE0: 00383880
	v_cmp_lt_u32_e32 vcc, v197, v213                           // 000000017EE4: 7D93ABC5
	v_cndmask_b32_e32 v44, 0, v44, vcc                         // 000000017EE8: 00585880
	v_cmp_lt_u32_e32 vcc, v197, v214                           // 000000017EEC: 7D93ADC5
	v_cndmask_b32_e32 v60, 0, v60, vcc                         // 000000017EF0: 00787880
	v_add_u32_e32 v197, 0x81, v196                             // 000000017EF4: 698B88FF 00000081
	v_cmp_lt_u32_e32 vcc, v197, v211                           // 000000017EFC: 7D93A7C5
	v_cndmask_b32_e32 v13, 0, v13, vcc                         // 000000017F00: 001A1A80
	v_cmp_lt_u32_e32 vcc, v197, v212                           // 000000017F04: 7D93A9C5
	v_cndmask_b32_e32 v29, 0, v29, vcc                         // 000000017F08: 003A3A80
	v_cmp_lt_u32_e32 vcc, v197, v213                           // 000000017F0C: 7D93ABC5
	v_cndmask_b32_e32 v45, 0, v45, vcc                         // 000000017F10: 005A5A80
	v_cmp_lt_u32_e32 vcc, v197, v214                           // 000000017F14: 7D93ADC5
	v_cndmask_b32_e32 v61, 0, v61, vcc                         // 000000017F18: 007A7A80
	v_add_u32_e32 v197, 0x82, v196                             // 000000017F1C: 698B88FF 00000082
	v_cmp_lt_u32_e32 vcc, v197, v211                           // 000000017F24: 7D93A7C5
	v_cndmask_b32_e32 v14, 0, v14, vcc                         // 000000017F28: 001C1C80
	v_cmp_lt_u32_e32 vcc, v197, v212                           // 000000017F2C: 7D93A9C5
	v_cndmask_b32_e32 v30, 0, v30, vcc                         // 000000017F30: 003C3C80
	v_cmp_lt_u32_e32 vcc, v197, v213                           // 000000017F34: 7D93ABC5
	v_cndmask_b32_e32 v46, 0, v46, vcc                         // 000000017F38: 005C5C80
	v_cmp_lt_u32_e32 vcc, v197, v214                           // 000000017F3C: 7D93ADC5
	v_cndmask_b32_e32 v62, 0, v62, vcc                         // 000000017F40: 007C7C80
	v_add_u32_e32 v197, 0x83, v196                             // 000000017F44: 698B88FF 00000083
	v_cmp_lt_u32_e32 vcc, v197, v211                           // 000000017F4C: 7D93A7C5
	v_cndmask_b32_e32 v15, 0, v15, vcc                         // 000000017F50: 001E1E80
	v_cmp_lt_u32_e32 vcc, v197, v212                           // 000000017F54: 7D93A9C5
	v_cndmask_b32_e32 v31, 0, v31, vcc                         // 000000017F58: 003E3E80
	v_cmp_lt_u32_e32 vcc, v197, v213                           // 000000017F5C: 7D93ABC5
	v_cndmask_b32_e32 v47, 0, v47, vcc                         // 000000017F60: 005E5E80
	v_cmp_lt_u32_e32 vcc, v197, v214                           // 000000017F64: 7D93ADC5
	v_cndmask_b32_e32 v63, 0, v63, vcc                         // 000000017F68: 007E7E80
	v_add_u32_e32 v197, 0xc0, v196                             // 000000017F6C: 698B88FF 000000C0
	v_cmp_lt_u32_e32 vcc, v197, v211                           // 000000017F74: 7D93A7C5
	v_cndmask_b32_e32 v16, 0, v16, vcc                         // 000000017F78: 00202080
	v_cmp_lt_u32_e32 vcc, v197, v212                           // 000000017F7C: 7D93A9C5
	v_cndmask_b32_e32 v32, 0, v32, vcc                         // 000000017F80: 00404080
	v_cmp_lt_u32_e32 vcc, v197, v213                           // 000000017F84: 7D93ABC5
	v_cndmask_b32_e32 v48, 0, v48, vcc                         // 000000017F88: 00606080
	v_cmp_lt_u32_e32 vcc, v197, v214                           // 000000017F8C: 7D93ADC5
	v_cndmask_b32_e32 v64, 0, v64, vcc                         // 000000017F90: 00808080
	v_add_u32_e32 v197, 0xc1, v196                             // 000000017F94: 698B88FF 000000C1
	v_cmp_lt_u32_e32 vcc, v197, v211                           // 000000017F9C: 7D93A7C5
	v_cndmask_b32_e32 v17, 0, v17, vcc                         // 000000017FA0: 00222280
	v_cmp_lt_u32_e32 vcc, v197, v212                           // 000000017FA4: 7D93A9C5
	v_cndmask_b32_e32 v33, 0, v33, vcc                         // 000000017FA8: 00424280
	v_cmp_lt_u32_e32 vcc, v197, v213                           // 000000017FAC: 7D93ABC5
	v_cndmask_b32_e32 v49, 0, v49, vcc                         // 000000017FB0: 00626280
	v_cmp_lt_u32_e32 vcc, v197, v214                           // 000000017FB4: 7D93ADC5
	v_cndmask_b32_e32 v65, 0, v65, vcc                         // 000000017FB8: 00828280
	v_add_u32_e32 v197, 0xc2, v196                             // 000000017FBC: 698B88FF 000000C2
	v_cmp_lt_u32_e32 vcc, v197, v211                           // 000000017FC4: 7D93A7C5
	v_cndmask_b32_e32 v18, 0, v18, vcc                         // 000000017FC8: 00242480
	v_cmp_lt_u32_e32 vcc, v197, v212                           // 000000017FCC: 7D93A9C5
	v_cndmask_b32_e32 v34, 0, v34, vcc                         // 000000017FD0: 00444480
	v_cmp_lt_u32_e32 vcc, v197, v213                           // 000000017FD4: 7D93ABC5
	v_cndmask_b32_e32 v50, 0, v50, vcc                         // 000000017FD8: 00646480
	v_cmp_lt_u32_e32 vcc, v197, v214                           // 000000017FDC: 7D93ADC5
	v_cndmask_b32_e32 v66, 0, v66, vcc                         // 000000017FE0: 00848480
	v_add_u32_e32 v197, 0xc3, v196                             // 000000017FE4: 698B88FF 000000C3
	v_cmp_lt_u32_e32 vcc, v197, v211                           // 000000017FEC: 7D93A7C5
	v_cndmask_b32_e32 v19, 0, v19, vcc                         // 000000017FF0: 00262680
	v_cmp_lt_u32_e32 vcc, v197, v212                           // 000000017FF4: 7D93A9C5
	v_cndmask_b32_e32 v35, 0, v35, vcc                         // 000000017FF8: 00464680
	v_cmp_lt_u32_e32 vcc, v197, v213                           // 000000017FFC: 7D93ABC5
	v_cndmask_b32_e32 v51, 0, v51, vcc                         // 000000018000: 00666680
	v_cmp_lt_u32_e32 vcc, v197, v214                           // 000000018004: 7D93ADC5
	v_cndmask_b32_e32 v67, 0, v67, vcc                         // 000000018008: 00868680
	v_mov_b32_e32 v176, 0x358637bd                             // 00000001800C: 7F6002FF 358637BD
	v_max3_f32 v176, |v4|, |v5|, v176                          // 000000018014: D1D303B0 06C20B04
	v_max3_f32 v176, |v6|, |v7|, v176                          // 00000001801C: D1D303B0 06C20F06
	v_max3_f32 v176, |v8|, |v9|, v176                          // 000000018024: D1D303B0 06C21308
	v_max3_f32 v176, |v10|, |v11|, v176                        // 00000001802C: D1D303B0 06C2170A
	v_max3_f32 v176, |v12|, |v13|, v176                        // 000000018034: D1D303B0 06C21B0C
	v_max3_f32 v176, |v14|, |v15|, v176                        // 00000001803C: D1D303B0 06C21F0E
	v_max3_f32 v176, |v16|, |v17|, v176                        // 000000018044: D1D303B0 06C22310
	v_max3_f32 v176, |v18|, |v19|, v176                        // 00000001804C: D1D303B0 06C22712
	v_mov_b32_e32 v177, 0x358637bd                             // 000000018054: 7F6202FF 358637BD
	v_max3_f32 v177, |v20|, |v21|, v177                        // 00000001805C: D1D303B1 06C62B14
	v_max3_f32 v177, |v22|, |v23|, v177                        // 000000018064: D1D303B1 06C62F16
	v_max3_f32 v177, |v24|, |v25|, v177                        // 00000001806C: D1D303B1 06C63318
	v_max3_f32 v177, |v26|, |v27|, v177                        // 000000018074: D1D303B1 06C6371A
	v_max3_f32 v177, |v28|, |v29|, v177                        // 00000001807C: D1D303B1 06C63B1C
	v_max3_f32 v177, |v30|, |v31|, v177                        // 000000018084: D1D303B1 06C63F1E
	v_max3_f32 v177, |v32|, |v33|, v177                        // 00000001808C: D1D303B1 06C64320
	v_max3_f32 v177, |v34|, |v35|, v177                        // 000000018094: D1D303B1 06C64722
	v_mov_b32_e32 v178, 0x358637bd                             // 00000001809C: 7F6402FF 358637BD
	v_max3_f32 v178, |v36|, |v37|, v178                        // 0000000180A4: D1D303B2 06CA4B24
	v_max3_f32 v178, |v38|, |v39|, v178                        // 0000000180AC: D1D303B2 06CA4F26
	v_max3_f32 v178, |v40|, |v41|, v178                        // 0000000180B4: D1D303B2 06CA5328
	v_max3_f32 v178, |v42|, |v43|, v178                        // 0000000180BC: D1D303B2 06CA572A
	v_max3_f32 v178, |v44|, |v45|, v178                        // 0000000180C4: D1D303B2 06CA5B2C
	v_max3_f32 v178, |v46|, |v47|, v178                        // 0000000180CC: D1D303B2 06CA5F2E
	v_max3_f32 v178, |v48|, |v49|, v178                        // 0000000180D4: D1D303B2 06CA6330
	v_max3_f32 v178, |v50|, |v51|, v178                        // 0000000180DC: D1D303B2 06CA6732
	v_mov_b32_e32 v179, 0x358637bd                             // 0000000180E4: 7F6602FF 358637BD
	v_max3_f32 v179, |v52|, |v53|, v179                        // 0000000180EC: D1D303B3 06CE6B34
	v_max3_f32 v179, |v54|, |v55|, v179                        // 0000000180F4: D1D303B3 06CE6F36
	v_max3_f32 v179, |v56|, |v57|, v179                        // 0000000180FC: D1D303B3 06CE7338
	v_max3_f32 v179, |v58|, |v59|, v179                        // 000000018104: D1D303B3 06CE773A
	v_max3_f32 v179, |v60|, |v61|, v179                        // 00000001810C: D1D303B3 06CE7B3C
	v_max3_f32 v179, |v62|, |v63|, v179                        // 000000018114: D1D303B3 06CE7F3E
	v_max3_f32 v179, |v64|, |v65|, v179                        // 00000001811C: D1D303B3 06CE8340
	v_max3_f32 v179, |v66|, |v67|, v179                        // 000000018124: D1D303B3 06CE8742
	ds_bpermute_b32 v180, v200, v176                           // 00000001812C: D87E0000 B400B0C8
	ds_bpermute_b32 v181, v201, v176                           // 000000018134: D87E0000 B500B0C9
	ds_bpermute_b32 v182, v202, v176                           // 00000001813C: D87E0000 B600B0CA
	ds_bpermute_b32 v183, v200, v177                           // 000000018144: D87E0000 B700B1C8
	ds_bpermute_b32 v184, v201, v177                           // 00000001814C: D87E0000 B800B1C9
	ds_bpermute_b32 v185, v202, v177                           // 000000018154: D87E0000 B900B1CA
	ds_bpermute_b32 v186, v200, v178                           // 00000001815C: D87E0000 BA00B2C8
	ds_bpermute_b32 v187, v201, v178                           // 000000018164: D87E0000 BB00B2C9
	ds_bpermute_b32 v188, v202, v178                           // 00000001816C: D87E0000 BC00B2CA
	ds_bpermute_b32 v189, v200, v179                           // 000000018174: D87E0000 BD00B3C8
	ds_bpermute_b32 v190, v201, v179                           // 00000001817C: D87E0000 BE00B3C9
	ds_bpermute_b32 v191, v202, v179                           // 000000018184: D87E0000 BF00B3CA
	s_waitcnt lgkmcnt(9)                                       // 00000001818C: BF8CC97F
	v_max3_f32 v176, v180, v181, v176                          // 000000018190: D1D300B0 06C36BB4
	v_max_f32_e32 v176, v182, v176                             // 000000018198: 176161B6
	s_waitcnt lgkmcnt(6)                                       // 00000001819C: BF8CC67F
	v_max3_f32 v177, v183, v184, v177                          // 0000000181A0: D1D300B1 06C771B7
	v_max_f32_e32 v177, v185, v177                             // 0000000181A8: 176363B9
	s_waitcnt lgkmcnt(3)                                       // 0000000181AC: BF8CC37F
	v_max3_f32 v178, v186, v187, v178                          // 0000000181B0: D1D300B2 06CB77BA
	v_max_f32_e32 v178, v188, v178                             // 0000000181B8: 176565BC
	s_waitcnt lgkmcnt(0)                                       // 0000000181BC: BF8CC07F
	v_max3_f32 v179, v189, v190, v179                          // 0000000181C0: D1D300B3 06CF7DBD
	v_max_f32_e32 v179, v191, v179                             // 0000000181C8: 176767BF
	ds_write_b128 v247, v[176:179] offset:4096                 // 0000000181CC: D9BE1000 0000B0F7
	buffer_load_dword v140, v231, s[20:23], 0 offen            // 0000000181D4: E0501000 80058CE7
	s_waitcnt lgkmcnt(0)                                       // 0000000181DC: BF8CC07F
	s_barrier                                                  // 0000000181E0: BF8A0000
	buffer_load_dword v142, v232, s[24:27], 0 offen            // 0000000181E4: E0501000 80068EE8
	ds_read_b128 v[180:183], v248 offset:4096                  // 0000000181EC: D9FE1000 B40000F8
	ds_read_b128 v[184:187], v248 offset:4352                  // 0000000181F4: D9FE1100 B80000F8
	ds_read_b128 v[188:191], v248 offset:4608                  // 0000000181FC: D9FE1200 BC0000F8
	ds_read_b128 v[192:195], v248 offset:4864                  // 000000018204: D9FE1300 C00000F8
	s_waitcnt lgkmcnt(0)                                       // 00000001820C: BF8CC07F
	v_max3_f32 v176, v180, v184, v176                          // 000000018210: D1D300B0 06C371B4
	v_max3_f32 v177, v181, v185, v177                          // 000000018218: D1D300B1 06C773B5
	v_max3_f32 v178, v182, v186, v178                          // 000000018220: D1D300B2 06CB75B6
	v_max3_f32 v179, v183, v187, v179                          // 000000018228: D1D300B3 06CF77B7
	v_max3_f32 v176, v188, v192, v176                          // 000000018230: D1D300B0 06C381BC
	v_max3_f32 v177, v189, v193, v177                          // 000000018238: D1D300B1 06C783BD
	v_max3_f32 v178, v190, v194, v178                          // 000000018240: D1D300B2 06CB85BE
	v_max3_f32 v179, v191, v195, v179                          // 000000018248: D1D300B3 06CF87BF
	v_rcp_f32_e32 v176, v176                                   // 000000018250: 7F6045B0
	v_rcp_f32_e32 v177, v177                                   // 000000018254: 7F6245B1
	v_rcp_f32_e32 v178, v178                                   // 000000018258: 7F6445B2
	v_rcp_f32_e32 v179, v179                                   // 00000001825C: 7F6645B3
	v_mul_f32_e32 v176, 0x43700000, v176                       // 000000018260: 0B6160FF 43700000
	v_mul_f32_e32 v177, 0x43700000, v177                       // 000000018268: 0B6362FF 43700000
	v_mul_f32_e32 v178, 0x43700000, v178                       // 000000018270: 0B6564FF 43700000
	v_mul_f32_e32 v179, 0x43700000, v179                       // 000000018278: 0B6766FF 43700000
	v_mul_f32_e32 v4, v176, v4                                 // 000000018280: 0A0809B0
	v_mul_f32_e32 v5, v176, v5                                 // 000000018284: 0A0A0BB0
	v_mul_f32_e32 v6, v176, v6                                 // 000000018288: 0A0C0DB0
	v_mul_f32_e32 v7, v176, v7                                 // 00000001828C: 0A0E0FB0
	v_mul_f32_e32 v8, v176, v8                                 // 000000018290: 0A1011B0
	v_mul_f32_e32 v9, v176, v9                                 // 000000018294: 0A1213B0
	v_mul_f32_e32 v10, v176, v10                               // 000000018298: 0A1415B0
	v_mul_f32_e32 v11, v176, v11                               // 00000001829C: 0A1617B0
	v_mul_f32_e32 v12, v176, v12                               // 0000000182A0: 0A1819B0
	v_mul_f32_e32 v13, v176, v13                               // 0000000182A4: 0A1A1BB0
	v_mul_f32_e32 v14, v176, v14                               // 0000000182A8: 0A1C1DB0
	v_mul_f32_e32 v15, v176, v15                               // 0000000182AC: 0A1E1FB0
	v_mul_f32_e32 v16, v176, v16                               // 0000000182B0: 0A2021B0
	v_mul_f32_e32 v17, v176, v17                               // 0000000182B4: 0A2223B0
	v_mul_f32_e32 v18, v176, v18                               // 0000000182B8: 0A2425B0
	v_mul_f32_e32 v19, v176, v19                               // 0000000182BC: 0A2627B0
	v_mul_f32_e32 v20, v177, v20                               // 0000000182C0: 0A2829B1
	v_mul_f32_e32 v21, v177, v21                               // 0000000182C4: 0A2A2BB1
	v_mul_f32_e32 v22, v177, v22                               // 0000000182C8: 0A2C2DB1
	v_mul_f32_e32 v23, v177, v23                               // 0000000182CC: 0A2E2FB1
	v_mul_f32_e32 v24, v177, v24                               // 0000000182D0: 0A3031B1
	v_mul_f32_e32 v25, v177, v25                               // 0000000182D4: 0A3233B1
	v_mul_f32_e32 v26, v177, v26                               // 0000000182D8: 0A3435B1
	v_mul_f32_e32 v27, v177, v27                               // 0000000182DC: 0A3637B1
	v_mul_f32_e32 v28, v177, v28                               // 0000000182E0: 0A3839B1
	v_mul_f32_e32 v29, v177, v29                               // 0000000182E4: 0A3A3BB1
	v_mul_f32_e32 v30, v177, v30                               // 0000000182E8: 0A3C3DB1
	v_mul_f32_e32 v31, v177, v31                               // 0000000182EC: 0A3E3FB1
	v_mul_f32_e32 v32, v177, v32                               // 0000000182F0: 0A4041B1
	v_mul_f32_e32 v33, v177, v33                               // 0000000182F4: 0A4243B1
	v_mul_f32_e32 v34, v177, v34                               // 0000000182F8: 0A4445B1
	v_mul_f32_e32 v35, v177, v35                               // 0000000182FC: 0A4647B1
	v_mul_f32_e32 v36, v178, v36                               // 000000018300: 0A4849B2
	v_mul_f32_e32 v37, v178, v37                               // 000000018304: 0A4A4BB2
	v_mul_f32_e32 v38, v178, v38                               // 000000018308: 0A4C4DB2
	v_mul_f32_e32 v39, v178, v39                               // 00000001830C: 0A4E4FB2
	v_mul_f32_e32 v40, v178, v40                               // 000000018310: 0A5051B2
	v_mul_f32_e32 v41, v178, v41                               // 000000018314: 0A5253B2
	v_mul_f32_e32 v42, v178, v42                               // 000000018318: 0A5455B2
	v_mul_f32_e32 v43, v178, v43                               // 00000001831C: 0A5657B2
	v_mul_f32_e32 v44, v178, v44                               // 000000018320: 0A5859B2
	v_mul_f32_e32 v45, v178, v45                               // 000000018324: 0A5A5BB2
	v_mul_f32_e32 v46, v178, v46                               // 000000018328: 0A5C5DB2
	v_mul_f32_e32 v47, v178, v47                               // 00000001832C: 0A5E5FB2
	v_mul_f32_e32 v48, v178, v48                               // 000000018330: 0A6061B2
	v_mul_f32_e32 v49, v178, v49                               // 000000018334: 0A6263B2
	v_mul_f32_e32 v50, v178, v50                               // 000000018338: 0A6465B2
	v_mul_f32_e32 v51, v178, v51                               // 00000001833C: 0A6667B2
	v_mul_f32_e32 v52, v179, v52                               // 000000018340: 0A6869B3
	v_mul_f32_e32 v53, v179, v53                               // 000000018344: 0A6A6BB3
	v_mul_f32_e32 v54, v179, v54                               // 000000018348: 0A6C6DB3
	v_mul_f32_e32 v55, v179, v55                               // 00000001834C: 0A6E6FB3
	v_mul_f32_e32 v56, v179, v56                               // 000000018350: 0A7071B3
	v_mul_f32_e32 v57, v179, v57                               // 000000018354: 0A7273B3
	v_mul_f32_e32 v58, v179, v58                               // 000000018358: 0A7475B3
	v_mul_f32_e32 v59, v179, v59                               // 00000001835C: 0A7677B3
	v_mul_f32_e32 v60, v179, v60                               // 000000018360: 0A7879B3
	v_mul_f32_e32 v61, v179, v61                               // 000000018364: 0A7A7BB3
	v_mul_f32_e32 v62, v179, v62                               // 000000018368: 0A7C7DB3
	v_mul_f32_e32 v63, v179, v63                               // 00000001836C: 0A7E7FB3
	v_mul_f32_e32 v64, v179, v64                               // 000000018370: 0A8081B3
	v_mul_f32_e32 v65, v179, v65                               // 000000018374: 0A8283B3
	v_mul_f32_e32 v66, v179, v66                               // 000000018378: 0A8485B3
	v_mul_f32_e32 v67, v179, v67                               // 00000001837C: 0A8687B3
	v_cvt_pk_fp8_f32 v4, v4, v5                                // 000000018380: D2A20004 00020B04
	v_cvt_pk_fp8_f32 v4, v6, v7 op_sel:[0,0,1]                 // 000000018388: D2A24004 00020F06
	v_cvt_pk_fp8_f32 v5, v8, v9                                // 000000018390: D2A20005 00021308
	v_cvt_pk_fp8_f32 v5, v10, v11 op_sel:[0,0,1]               // 000000018398: D2A24005 0002170A
	v_cvt_pk_fp8_f32 v6, v12, v13                              // 0000000183A0: D2A20006 00021B0C
	v_cvt_pk_fp8_f32 v6, v14, v15 op_sel:[0,0,1]               // 0000000183A8: D2A24006 00021F0E
	v_cvt_pk_fp8_f32 v7, v16, v17                              // 0000000183B0: D2A20007 00022310
	v_cvt_pk_fp8_f32 v7, v18, v19 op_sel:[0,0,1]               // 0000000183B8: D2A24007 00022712
	v_cvt_pk_fp8_f32 v8, v20, v21                              // 0000000183C0: D2A20008 00022B14
	v_cvt_pk_fp8_f32 v8, v22, v23 op_sel:[0,0,1]               // 0000000183C8: D2A24008 00022F16
	v_cvt_pk_fp8_f32 v9, v24, v25                              // 0000000183D0: D2A20009 00023318
	v_cvt_pk_fp8_f32 v9, v26, v27 op_sel:[0,0,1]               // 0000000183D8: D2A24009 0002371A
	v_cvt_pk_fp8_f32 v10, v28, v29                             // 0000000183E0: D2A2000A 00023B1C
	v_cvt_pk_fp8_f32 v10, v30, v31 op_sel:[0,0,1]              // 0000000183E8: D2A2400A 00023F1E
	v_cvt_pk_fp8_f32 v11, v32, v33                             // 0000000183F0: D2A2000B 00024320
	v_cvt_pk_fp8_f32 v11, v34, v35 op_sel:[0,0,1]              // 0000000183F8: D2A2400B 00024722
	v_cvt_pk_fp8_f32 v12, v36, v37                             // 000000018400: D2A2000C 00024B24
	v_cvt_pk_fp8_f32 v12, v38, v39 op_sel:[0,0,1]              // 000000018408: D2A2400C 00024F26
	v_cvt_pk_fp8_f32 v13, v40, v41                             // 000000018410: D2A2000D 00025328
	v_cvt_pk_fp8_f32 v13, v42, v43 op_sel:[0,0,1]              // 000000018418: D2A2400D 0002572A
	v_cvt_pk_fp8_f32 v14, v44, v45                             // 000000018420: D2A2000E 00025B2C
	v_cvt_pk_fp8_f32 v14, v46, v47 op_sel:[0,0,1]              // 000000018428: D2A2400E 00025F2E
	v_cvt_pk_fp8_f32 v15, v48, v49                             // 000000018430: D2A2000F 00026330
	v_cvt_pk_fp8_f32 v15, v50, v51 op_sel:[0,0,1]              // 000000018438: D2A2400F 00026732
	v_cvt_pk_fp8_f32 v16, v52, v53                             // 000000018440: D2A20010 00026B34
	v_cvt_pk_fp8_f32 v16, v54, v55 op_sel:[0,0,1]              // 000000018448: D2A24010 00026F36
	v_cvt_pk_fp8_f32 v17, v56, v57                             // 000000018450: D2A20011 00027338
	v_cvt_pk_fp8_f32 v17, v58, v59 op_sel:[0,0,1]              // 000000018458: D2A24011 0002773A
	v_cvt_pk_fp8_f32 v18, v60, v61                             // 000000018460: D2A20012 00027B3C
	v_cvt_pk_fp8_f32 v18, v62, v63 op_sel:[0,0,1]              // 000000018468: D2A24012 00027F3E
	v_cvt_pk_fp8_f32 v19, v64, v65                             // 000000018470: D2A20013 00028340
	v_cvt_pk_fp8_f32 v19, v66, v67 op_sel:[0,0,1]              // 000000018478: D2A24013 00028742
	ds_write_b32 v249, v4 offset:8192                          // 000000018480: D81A2000 000004F9
	ds_write_b32 v249, v5 offset:9216                          // 000000018488: D81A2400 000005F9
	ds_write_b32 v249, v6 offset:10240                         // 000000018490: D81A2800 000006F9
	ds_write_b32 v249, v7 offset:11264                         // 000000018498: D81A2C00 000007F9
	ds_write_b32 v249, v8 offset:12288                         // 0000000184A0: D81A3000 000008F9
	ds_write_b32 v249, v9 offset:13312                         // 0000000184A8: D81A3400 000009F9
	ds_write_b32 v249, v10 offset:14336                        // 0000000184B0: D81A3800 00000AF9
	ds_write_b32 v249, v11 offset:15360                        // 0000000184B8: D81A3C00 00000BF9
	ds_write_b32 v249, v12 offset:16384                        // 0000000184C0: D81A4000 00000CF9
	ds_write_b32 v249, v13 offset:17408                        // 0000000184C8: D81A4400 00000DF9
	ds_write_b32 v249, v14 offset:18432                        // 0000000184D0: D81A4800 00000EF9
	ds_write_b32 v249, v15 offset:19456                        // 0000000184D8: D81A4C00 00000FF9
	ds_write_b32 v249, v16 offset:20480                        // 0000000184E0: D81A5000 000010F9
	ds_write_b32 v249, v17 offset:21504                        // 0000000184E8: D81A5400 000011F9
	ds_write_b32 v249, v18 offset:22528                        // 0000000184F0: D81A5800 000012F9
	ds_write_b32 v249, v19 offset:23552                        // 0000000184F8: D81A5C00 000013F9
	v_rcp_f32_e32 v144, v176                                   // 000000018500: 7F2045B0
	v_rcp_f32_e32 v146, v177                                   // 000000018504: 7F2445B1
	v_rcp_f32_e32 v148, v178                                   // 000000018508: 7F2845B2
	v_rcp_f32_e32 v150, v179                                   // 00000001850C: 7F2C45B3
	v_mov_b32_e32 v145, v144                                   // 000000018510: 7F220390
	v_mov_b32_e32 v147, v146                                   // 000000018514: 7F260392
	v_mov_b32_e32 v149, v148                                   // 000000018518: 7F2A0394
	v_mov_b32_e32 v151, v150                                   // 00000001851C: 7F2E0396
	v_pk_add_f32 v[100:101], v[100:101], v[68:69]              // 000000018520: D3B24064 18028964
	v_pk_add_f32 v[102:103], v[102:103], v[70:71]              // 000000018528: D3B24066 18028D66
	v_pk_add_f32 v[104:105], v[104:105], v[72:73]              // 000000018530: D3B24068 18029168
	v_pk_add_f32 v[106:107], v[106:107], v[74:75]              // 000000018538: D3B2406A 1802956A
	v_pk_add_f32 v[108:109], v[108:109], v[76:77]              // 000000018540: D3B2406C 1802996C
	v_pk_add_f32 v[110:111], v[110:111], v[78:79]              // 000000018548: D3B2406E 18029D6E
	v_pk_add_f32 v[112:113], v[112:113], v[80:81]              // 000000018550: D3B24070 1802A170
	v_pk_add_f32 v[114:115], v[114:115], v[82:83]              // 000000018558: D3B24072 1802A572
	v_pk_add_f32 v[116:117], v[116:117], v[84:85]              // 000000018560: D3B24074 1802A974
	v_pk_add_f32 v[118:119], v[118:119], v[86:87]              // 000000018568: D3B24076 1802AD76
	v_pk_add_f32 v[120:121], v[120:121], v[88:89]              // 000000018570: D3B24078 1802B178
	v_pk_add_f32 v[122:123], v[122:123], v[90:91]              // 000000018578: D3B2407A 1802B57A
	v_pk_add_f32 v[124:125], v[124:125], v[92:93]              // 000000018580: D3B2407C 1802B97C
	v_pk_add_f32 v[126:127], v[126:127], v[94:95]              // 000000018588: D3B2407E 1802BD7E
	v_pk_add_f32 v[128:129], v[128:129], v[96:97]              // 000000018590: D3B24080 1802C180
	v_pk_add_f32 v[130:131], v[130:131], v[98:99]              // 000000018598: D3B24082 1802C582
	s_waitcnt lgkmcnt(0)                                       // 0000000185A0: BF8CC07F
	s_barrier                                                  // 0000000185A4: BF8A0000
	ds_read_b128 v[4:7], v250 offset:8192                      // 0000000185A8: D9FE2000 040000FA
	ds_read_b128 v[8:11], v250 offset:9216                     // 0000000185B0: D9FE2400 080000FA
	ds_read_b128 v[12:15], v250 offset:10240                   // 0000000185B8: D9FE2800 0C0000FA
	ds_read_b128 v[16:19], v250 offset:11264                   // 0000000185C0: D9FE2C00 100000FA
	ds_read_b128 v[20:23], v250 offset:12288                   // 0000000185C8: D9FE3000 140000FA
	ds_read_b128 v[24:27], v250 offset:13312                   // 0000000185D0: D9FE3400 180000FA
	ds_read_b128 v[28:31], v250 offset:14336                   // 0000000185D8: D9FE3800 1C0000FA
	ds_read_b128 v[32:35], v250 offset:15360                   // 0000000185E0: D9FE3C00 200000FA
	ds_read_b128 v[36:39], v250 offset:16384                   // 0000000185E8: D9FE4000 240000FA
	ds_read_b128 v[40:43], v250 offset:17408                   // 0000000185F0: D9FE4400 280000FA
	ds_read_b128 v[44:47], v250 offset:18432                   // 0000000185F8: D9FE4800 2C0000FA
	ds_read_b128 v[48:51], v250 offset:19456                   // 000000018600: D9FE4C00 300000FA
	ds_read_b128 v[52:55], v250 offset:20480                   // 000000018608: D9FE5000 340000FA
	ds_read_b128 v[56:59], v250 offset:21504                   // 000000018610: D9FE5400 380000FA
	ds_read_b128 v[60:63], v250 offset:22528                   // 000000018618: D9FE5800 3C0000FA
	ds_read_b128 v[64:67], v250 offset:23552                   // 000000018620: D9FE5C00 400000FA
	s_waitcnt vmcnt(10)                                        // 000000018628: BF8C0F7A
	v_lshrrev_b32_e32 v203, 4, v0                              // 00000001862C: 21960084
	v_lshlrev_b32_e32 v203, 4, v203                            // 000000018630: 25979684
	v_add_u32_e32 v196, s64, v203                              // 000000018634: 69899640
	v_add_u32_e32 v196, 4, v196                                // 000000018638: 69898884
	v_sub_i32 v196, v196, s62                                  // 00000001863C: D29D00C4 00007DC4
	s_mov_b32 s54, 0                                           // 000000018644: BEB60080
	v_add_i32 v197, s54, v196                                  // 000000018648: D29C00C5 00038836
	v_cmp_lt_i32_e64 vcc, v197, 4                              // 000000018650: D0C1006A 000109C5
	v_min_u32_e32 v197, 4, v197                                // 000000018658: 1D8B8A84
	v_lshlrev_b32_e32 v197, 3, v197                            // 00000001865C: 258B8A83
	v_lshrrev_b32_e64 v198, v197, -1                           // 000000018660: D11000C6 000183C5
	v_accvgpr_read_b32 v199, a128                              // 000000018668: D3D840C7 18000180
	v_cndmask_b32_e32 v199, 0, v199, vcc                       // 000000018670: 018F8E80
	v_and_b32_e32 v199, v199, v198                             // 000000018674: 278F8DC7
	v_accvgpr_write_b32 a128, v199                             // 000000018678: D3D94080 180001C7
	v_accvgpr_read_b32 v199, a144                              // 000000018680: D3D840C7 18000190
	v_cndmask_b32_e32 v199, 0, v199, vcc                       // 000000018688: 018F8E80
	v_and_b32_e32 v199, v199, v198                             // 00000001868C: 278F8DC7
	v_accvgpr_write_b32 a144, v199                             // 000000018690: D3D94090 180001C7
	s_mov_b32 s54, 4                                           // 000000018698: BEB60084
	v_add_i32 v197, s54, v196                                  // 00000001869C: D29C00C5 00038836
	v_cmp_lt_i32_e64 vcc, v197, 4                              // 0000000186A4: D0C1006A 000109C5
	v_min_u32_e32 v197, 4, v197                                // 0000000186AC: 1D8B8A84
	v_lshlrev_b32_e32 v197, 3, v197                            // 0000000186B0: 258B8A83
	v_lshrrev_b32_e64 v198, v197, -1                           // 0000000186B4: D11000C6 000183C5
	v_accvgpr_read_b32 v199, a129                              // 0000000186BC: D3D840C7 18000181
	v_cndmask_b32_e32 v199, 0, v199, vcc                       // 0000000186C4: 018F8E80
	v_and_b32_e32 v199, v199, v198                             // 0000000186C8: 278F8DC7
	v_accvgpr_write_b32 a129, v199                             // 0000000186CC: D3D94081 180001C7
	v_accvgpr_read_b32 v199, a145                              // 0000000186D4: D3D840C7 18000191
	v_cndmask_b32_e32 v199, 0, v199, vcc                       // 0000000186DC: 018F8E80
	v_and_b32_e32 v199, v199, v198                             // 0000000186E0: 278F8DC7
	v_accvgpr_write_b32 a145, v199                             // 0000000186E4: D3D94091 180001C7
	s_mov_b32 s54, 8                                           // 0000000186EC: BEB60088
	v_add_i32 v197, s54, v196                                  // 0000000186F0: D29C00C5 00038836
	v_cmp_lt_i32_e64 vcc, v197, 4                              // 0000000186F8: D0C1006A 000109C5
	v_min_u32_e32 v197, 4, v197                                // 000000018700: 1D8B8A84
	v_lshlrev_b32_e32 v197, 3, v197                            // 000000018704: 258B8A83
	v_lshrrev_b32_e64 v198, v197, -1                           // 000000018708: D11000C6 000183C5
	v_accvgpr_read_b32 v199, a130                              // 000000018710: D3D840C7 18000182
	v_cndmask_b32_e32 v199, 0, v199, vcc                       // 000000018718: 018F8E80
	v_and_b32_e32 v199, v199, v198                             // 00000001871C: 278F8DC7
	v_accvgpr_write_b32 a130, v199                             // 000000018720: D3D94082 180001C7
	v_accvgpr_read_b32 v199, a146                              // 000000018728: D3D840C7 18000192
	v_cndmask_b32_e32 v199, 0, v199, vcc                       // 000000018730: 018F8E80
	v_and_b32_e32 v199, v199, v198                             // 000000018734: 278F8DC7
	v_accvgpr_write_b32 a146, v199                             // 000000018738: D3D94092 180001C7
	s_mov_b32 s54, 12                                          // 000000018740: BEB6008C
	v_add_i32 v197, s54, v196                                  // 000000018744: D29C00C5 00038836
	v_cmp_lt_i32_e64 vcc, v197, 4                              // 00000001874C: D0C1006A 000109C5
	v_min_u32_e32 v197, 4, v197                                // 000000018754: 1D8B8A84
	v_lshlrev_b32_e32 v197, 3, v197                            // 000000018758: 258B8A83
	v_lshrrev_b32_e64 v198, v197, -1                           // 00000001875C: D11000C6 000183C5
	v_accvgpr_read_b32 v199, a131                              // 000000018764: D3D840C7 18000183
	v_cndmask_b32_e32 v199, 0, v199, vcc                       // 00000001876C: 018F8E80
	v_and_b32_e32 v199, v199, v198                             // 000000018770: 278F8DC7
	v_accvgpr_write_b32 a131, v199                             // 000000018774: D3D94083 180001C7
	v_accvgpr_read_b32 v199, a147                              // 00000001877C: D3D840C7 18000193
	v_cndmask_b32_e32 v199, 0, v199, vcc                       // 000000018784: 018F8E80
	v_and_b32_e32 v199, v199, v198                             // 000000018788: 278F8DC7
	v_accvgpr_write_b32 a147, v199                             // 00000001878C: D3D94093 180001C7
	s_mov_b32 s54, 64                                          // 000000018794: BEB600C0
	v_add_i32 v197, s54, v196                                  // 000000018798: D29C00C5 00038836
	v_cmp_lt_i32_e64 vcc, v197, 4                              // 0000000187A0: D0C1006A 000109C5
	v_min_u32_e32 v197, 4, v197                                // 0000000187A8: 1D8B8A84
	v_lshlrev_b32_e32 v197, 3, v197                            // 0000000187AC: 258B8A83
	v_lshrrev_b32_e64 v198, v197, -1                           // 0000000187B0: D11000C6 000183C5
	v_accvgpr_read_b32 v199, a132                              // 0000000187B8: D3D840C7 18000184
	v_cndmask_b32_e32 v199, 0, v199, vcc                       // 0000000187C0: 018F8E80
	v_and_b32_e32 v199, v199, v198                             // 0000000187C4: 278F8DC7
	v_accvgpr_write_b32 a132, v199                             // 0000000187C8: D3D94084 180001C7
	v_accvgpr_read_b32 v199, a148                              // 0000000187D0: D3D840C7 18000194
	v_cndmask_b32_e32 v199, 0, v199, vcc                       // 0000000187D8: 018F8E80
	v_and_b32_e32 v199, v199, v198                             // 0000000187DC: 278F8DC7
	v_accvgpr_write_b32 a148, v199                             // 0000000187E0: D3D94094 180001C7
	s_mov_b32 s54, 0x44                                        // 0000000187E8: BEB600FF 00000044
	v_add_i32 v197, s54, v196                                  // 0000000187F0: D29C00C5 00038836
	v_cmp_lt_i32_e64 vcc, v197, 4                              // 0000000187F8: D0C1006A 000109C5
	v_min_u32_e32 v197, 4, v197                                // 000000018800: 1D8B8A84
	v_lshlrev_b32_e32 v197, 3, v197                            // 000000018804: 258B8A83
	v_lshrrev_b32_e64 v198, v197, -1                           // 000000018808: D11000C6 000183C5
	v_accvgpr_read_b32 v199, a133                              // 000000018810: D3D840C7 18000185
	v_cndmask_b32_e32 v199, 0, v199, vcc                       // 000000018818: 018F8E80
	v_and_b32_e32 v199, v199, v198                             // 00000001881C: 278F8DC7
	v_accvgpr_write_b32 a133, v199                             // 000000018820: D3D94085 180001C7
	v_accvgpr_read_b32 v199, a149                              // 000000018828: D3D840C7 18000195
	v_cndmask_b32_e32 v199, 0, v199, vcc                       // 000000018830: 018F8E80
	v_and_b32_e32 v199, v199, v198                             // 000000018834: 278F8DC7
	v_accvgpr_write_b32 a149, v199                             // 000000018838: D3D94095 180001C7
	s_mov_b32 s54, 0x48                                        // 000000018840: BEB600FF 00000048
	v_add_i32 v197, s54, v196                                  // 000000018848: D29C00C5 00038836
	v_cmp_lt_i32_e64 vcc, v197, 4                              // 000000018850: D0C1006A 000109C5
	v_min_u32_e32 v197, 4, v197                                // 000000018858: 1D8B8A84
	v_lshlrev_b32_e32 v197, 3, v197                            // 00000001885C: 258B8A83
	v_lshrrev_b32_e64 v198, v197, -1                           // 000000018860: D11000C6 000183C5
	v_accvgpr_read_b32 v199, a134                              // 000000018868: D3D840C7 18000186
	v_cndmask_b32_e32 v199, 0, v199, vcc                       // 000000018870: 018F8E80
	v_and_b32_e32 v199, v199, v198                             // 000000018874: 278F8DC7
	v_accvgpr_write_b32 a134, v199                             // 000000018878: D3D94086 180001C7
	v_accvgpr_read_b32 v199, a150                              // 000000018880: D3D840C7 18000196
	v_cndmask_b32_e32 v199, 0, v199, vcc                       // 000000018888: 018F8E80
	v_and_b32_e32 v199, v199, v198                             // 00000001888C: 278F8DC7
	v_accvgpr_write_b32 a150, v199                             // 000000018890: D3D94096 180001C7
	s_mov_b32 s54, 0x4c                                        // 000000018898: BEB600FF 0000004C
	v_add_i32 v197, s54, v196                                  // 0000000188A0: D29C00C5 00038836
	v_cmp_lt_i32_e64 vcc, v197, 4                              // 0000000188A8: D0C1006A 000109C5
	v_min_u32_e32 v197, 4, v197                                // 0000000188B0: 1D8B8A84
	v_lshlrev_b32_e32 v197, 3, v197                            // 0000000188B4: 258B8A83
	v_lshrrev_b32_e64 v198, v197, -1                           // 0000000188B8: D11000C6 000183C5
	v_accvgpr_read_b32 v199, a135                              // 0000000188C0: D3D840C7 18000187
	v_cndmask_b32_e32 v199, 0, v199, vcc                       // 0000000188C8: 018F8E80
	v_and_b32_e32 v199, v199, v198                             // 0000000188CC: 278F8DC7
	v_accvgpr_write_b32 a135, v199                             // 0000000188D0: D3D94087 180001C7
	v_accvgpr_read_b32 v199, a151                              // 0000000188D8: D3D840C7 18000197
	v_cndmask_b32_e32 v199, 0, v199, vcc                       // 0000000188E0: 018F8E80
	v_and_b32_e32 v199, v199, v198                             // 0000000188E4: 278F8DC7
	v_accvgpr_write_b32 a151, v199                             // 0000000188E8: D3D94097 180001C7
	s_mov_b32 s54, 0x80                                        // 0000000188F0: BEB600FF 00000080
	v_add_i32 v197, s54, v196                                  // 0000000188F8: D29C00C5 00038836
	v_cmp_lt_i32_e64 vcc, v197, 4                              // 000000018900: D0C1006A 000109C5
	v_min_u32_e32 v197, 4, v197                                // 000000018908: 1D8B8A84
	v_lshlrev_b32_e32 v197, 3, v197                            // 00000001890C: 258B8A83
	v_lshrrev_b32_e64 v198, v197, -1                           // 000000018910: D11000C6 000183C5
	v_accvgpr_read_b32 v199, a136                              // 000000018918: D3D840C7 18000188
	v_cndmask_b32_e32 v199, 0, v199, vcc                       // 000000018920: 018F8E80
	v_and_b32_e32 v199, v199, v198                             // 000000018924: 278F8DC7
	v_accvgpr_write_b32 a136, v199                             // 000000018928: D3D94088 180001C7
	v_accvgpr_read_b32 v199, a152                              // 000000018930: D3D840C7 18000198
	v_cndmask_b32_e32 v199, 0, v199, vcc                       // 000000018938: 018F8E80
	v_and_b32_e32 v199, v199, v198                             // 00000001893C: 278F8DC7
	v_accvgpr_write_b32 a152, v199                             // 000000018940: D3D94098 180001C7
	s_mov_b32 s54, 0x84                                        // 000000018948: BEB600FF 00000084
	v_add_i32 v197, s54, v196                                  // 000000018950: D29C00C5 00038836
	v_cmp_lt_i32_e64 vcc, v197, 4                              // 000000018958: D0C1006A 000109C5
	v_min_u32_e32 v197, 4, v197                                // 000000018960: 1D8B8A84
	v_lshlrev_b32_e32 v197, 3, v197                            // 000000018964: 258B8A83
	v_lshrrev_b32_e64 v198, v197, -1                           // 000000018968: D11000C6 000183C5
	v_accvgpr_read_b32 v199, a137                              // 000000018970: D3D840C7 18000189
	v_cndmask_b32_e32 v199, 0, v199, vcc                       // 000000018978: 018F8E80
	v_and_b32_e32 v199, v199, v198                             // 00000001897C: 278F8DC7
	v_accvgpr_write_b32 a137, v199                             // 000000018980: D3D94089 180001C7
	v_accvgpr_read_b32 v199, a153                              // 000000018988: D3D840C7 18000199
	v_cndmask_b32_e32 v199, 0, v199, vcc                       // 000000018990: 018F8E80
	v_and_b32_e32 v199, v199, v198                             // 000000018994: 278F8DC7
	v_accvgpr_write_b32 a153, v199                             // 000000018998: D3D94099 180001C7
	s_mov_b32 s54, 0x88                                        // 0000000189A0: BEB600FF 00000088
	v_add_i32 v197, s54, v196                                  // 0000000189A8: D29C00C5 00038836
	v_cmp_lt_i32_e64 vcc, v197, 4                              // 0000000189B0: D0C1006A 000109C5
	v_min_u32_e32 v197, 4, v197                                // 0000000189B8: 1D8B8A84
	v_lshlrev_b32_e32 v197, 3, v197                            // 0000000189BC: 258B8A83
	v_lshrrev_b32_e64 v198, v197, -1                           // 0000000189C0: D11000C6 000183C5
	v_accvgpr_read_b32 v199, a138                              // 0000000189C8: D3D840C7 1800018A
	v_cndmask_b32_e32 v199, 0, v199, vcc                       // 0000000189D0: 018F8E80
	v_and_b32_e32 v199, v199, v198                             // 0000000189D4: 278F8DC7
	v_accvgpr_write_b32 a138, v199                             // 0000000189D8: D3D9408A 180001C7
	v_accvgpr_read_b32 v199, a154                              // 0000000189E0: D3D840C7 1800019A
	v_cndmask_b32_e32 v199, 0, v199, vcc                       // 0000000189E8: 018F8E80
	v_and_b32_e32 v199, v199, v198                             // 0000000189EC: 278F8DC7
	v_accvgpr_write_b32 a154, v199                             // 0000000189F0: D3D9409A 180001C7
	s_mov_b32 s54, 0x8c                                        // 0000000189F8: BEB600FF 0000008C
	v_add_i32 v197, s54, v196                                  // 000000018A00: D29C00C5 00038836
	v_cmp_lt_i32_e64 vcc, v197, 4                              // 000000018A08: D0C1006A 000109C5
	v_min_u32_e32 v197, 4, v197                                // 000000018A10: 1D8B8A84
	v_lshlrev_b32_e32 v197, 3, v197                            // 000000018A14: 258B8A83
	v_lshrrev_b32_e64 v198, v197, -1                           // 000000018A18: D11000C6 000183C5
	v_accvgpr_read_b32 v199, a139                              // 000000018A20: D3D840C7 1800018B
	v_cndmask_b32_e32 v199, 0, v199, vcc                       // 000000018A28: 018F8E80
	v_and_b32_e32 v199, v199, v198                             // 000000018A2C: 278F8DC7
	v_accvgpr_write_b32 a139, v199                             // 000000018A30: D3D9408B 180001C7
	v_accvgpr_read_b32 v199, a155                              // 000000018A38: D3D840C7 1800019B
	v_cndmask_b32_e32 v199, 0, v199, vcc                       // 000000018A40: 018F8E80
	v_and_b32_e32 v199, v199, v198                             // 000000018A44: 278F8DC7
	v_accvgpr_write_b32 a155, v199                             // 000000018A48: D3D9409B 180001C7
	s_mov_b32 s54, 0xc0                                        // 000000018A50: BEB600FF 000000C0
	v_add_i32 v197, s54, v196                                  // 000000018A58: D29C00C5 00038836
	v_cmp_lt_i32_e64 vcc, v197, 4                              // 000000018A60: D0C1006A 000109C5
	v_min_u32_e32 v197, 4, v197                                // 000000018A68: 1D8B8A84
	v_lshlrev_b32_e32 v197, 3, v197                            // 000000018A6C: 258B8A83
	v_lshrrev_b32_e64 v198, v197, -1                           // 000000018A70: D11000C6 000183C5
	v_accvgpr_read_b32 v199, a140                              // 000000018A78: D3D840C7 1800018C
	v_cndmask_b32_e32 v199, 0, v199, vcc                       // 000000018A80: 018F8E80
	v_and_b32_e32 v199, v199, v198                             // 000000018A84: 278F8DC7
	v_accvgpr_write_b32 a140, v199                             // 000000018A88: D3D9408C 180001C7
	v_accvgpr_read_b32 v199, a156                              // 000000018A90: D3D840C7 1800019C
	v_cndmask_b32_e32 v199, 0, v199, vcc                       // 000000018A98: 018F8E80
	v_and_b32_e32 v199, v199, v198                             // 000000018A9C: 278F8DC7
	v_accvgpr_write_b32 a156, v199                             // 000000018AA0: D3D9409C 180001C7
	s_mov_b32 s54, 0xc4                                        // 000000018AA8: BEB600FF 000000C4
	v_add_i32 v197, s54, v196                                  // 000000018AB0: D29C00C5 00038836
	v_cmp_lt_i32_e64 vcc, v197, 4                              // 000000018AB8: D0C1006A 000109C5
	v_min_u32_e32 v197, 4, v197                                // 000000018AC0: 1D8B8A84
	v_lshlrev_b32_e32 v197, 3, v197                            // 000000018AC4: 258B8A83
	v_lshrrev_b32_e64 v198, v197, -1                           // 000000018AC8: D11000C6 000183C5
	v_accvgpr_read_b32 v199, a141                              // 000000018AD0: D3D840C7 1800018D
	v_cndmask_b32_e32 v199, 0, v199, vcc                       // 000000018AD8: 018F8E80
	v_and_b32_e32 v199, v199, v198                             // 000000018ADC: 278F8DC7
	v_accvgpr_write_b32 a141, v199                             // 000000018AE0: D3D9408D 180001C7
	v_accvgpr_read_b32 v199, a157                              // 000000018AE8: D3D840C7 1800019D
	v_cndmask_b32_e32 v199, 0, v199, vcc                       // 000000018AF0: 018F8E80
	v_and_b32_e32 v199, v199, v198                             // 000000018AF4: 278F8DC7
	v_accvgpr_write_b32 a157, v199                             // 000000018AF8: D3D9409D 180001C7
	s_mov_b32 s54, 0xc8                                        // 000000018B00: BEB600FF 000000C8
	v_add_i32 v197, s54, v196                                  // 000000018B08: D29C00C5 00038836
	v_cmp_lt_i32_e64 vcc, v197, 4                              // 000000018B10: D0C1006A 000109C5
	v_min_u32_e32 v197, 4, v197                                // 000000018B18: 1D8B8A84
	v_lshlrev_b32_e32 v197, 3, v197                            // 000000018B1C: 258B8A83
	v_lshrrev_b32_e64 v198, v197, -1                           // 000000018B20: D11000C6 000183C5
	v_accvgpr_read_b32 v199, a142                              // 000000018B28: D3D840C7 1800018E
	v_cndmask_b32_e32 v199, 0, v199, vcc                       // 000000018B30: 018F8E80
	v_and_b32_e32 v199, v199, v198                             // 000000018B34: 278F8DC7
	v_accvgpr_write_b32 a142, v199                             // 000000018B38: D3D9408E 180001C7
	v_accvgpr_read_b32 v199, a158                              // 000000018B40: D3D840C7 1800019E
	v_cndmask_b32_e32 v199, 0, v199, vcc                       // 000000018B48: 018F8E80
	v_and_b32_e32 v199, v199, v198                             // 000000018B4C: 278F8DC7
	v_accvgpr_write_b32 a158, v199                             // 000000018B50: D3D9409E 180001C7
	s_mov_b32 s54, 0xcc                                        // 000000018B58: BEB600FF 000000CC
	v_add_i32 v197, s54, v196                                  // 000000018B60: D29C00C5 00038836
	v_cmp_lt_i32_e64 vcc, v197, 4                              // 000000018B68: D0C1006A 000109C5
	v_min_u32_e32 v197, 4, v197                                // 000000018B70: 1D8B8A84
	v_lshlrev_b32_e32 v197, 3, v197                            // 000000018B74: 258B8A83
	v_lshrrev_b32_e64 v198, v197, -1                           // 000000018B78: D11000C6 000183C5
	v_accvgpr_read_b32 v199, a143                              // 000000018B80: D3D840C7 1800018F
	v_cndmask_b32_e32 v199, 0, v199, vcc                       // 000000018B88: 018F8E80
	v_and_b32_e32 v199, v199, v198                             // 000000018B8C: 278F8DC7
	v_accvgpr_write_b32 a143, v199                             // 000000018B90: D3D9408F 180001C7
	v_accvgpr_read_b32 v199, a159                              // 000000018B98: D3D840C7 1800019F
	v_cndmask_b32_e32 v199, 0, v199, vcc                       // 000000018BA0: 018F8E80
	v_and_b32_e32 v199, v199, v198                             // 000000018BA4: 278F8DC7
	v_accvgpr_write_b32 a159, v199                             // 000000018BA8: D3D9409F 180001C7
	s_waitcnt vmcnt(63) expcnt(7) lgkmcnt(15)                  // 000000018BB0: BF8CCF7F
	v_mfma_f32_16x16x32_fp8_fp8 v[68:71], a[128:129], v[4:5], 0// 000000018BB4: D3F30044 0A020980
	v_mfma_f32_16x16x32_fp8_fp8 v[72:75], a[144:145], v[4:5], 0// 000000018BBC: D3F30048 0A020990
	v_mfma_f32_16x16x32_fp8_fp8 v[68:71], a[130:131], v[6:7], v[68:71]// 000000018BC4: D3F30044 0D120D82
	buffer_load_dwordx4 a[96:99], v227, s[16:19], 0 offen      // 000000018BCC: E05C1000 808460E3
	v_mfma_f32_16x16x32_fp8_fp8 v[72:75], a[146:147], v[6:7], v[72:75]// 000000018BD4: D3F30048 0D220D92
	s_waitcnt lgkmcnt(14)                                      // 000000018BDC: BF8CCE7F
	v_mfma_f32_16x16x32_fp8_fp8 v[68:71], a[132:133], v[8:9], v[68:71]// 000000018BE0: D3F30044 0D121184
	v_mfma_f32_16x16x32_fp8_fp8 v[72:75], a[148:149], v[8:9], v[72:75]// 000000018BE8: D3F30048 0D221194
	v_mfma_f32_16x16x32_fp8_fp8 v[68:71], a[134:135], v[10:11], v[68:71]// 000000018BF0: D3F30044 0D121586
	buffer_load_dwordx4 a[100:103], v228, s[16:19], 0 offen    // 000000018BF8: E05C1000 808464E4
	v_mfma_f32_16x16x32_fp8_fp8 v[72:75], a[150:151], v[10:11], v[72:75]// 000000018C00: D3F30048 0D221596
	s_waitcnt lgkmcnt(13)                                      // 000000018C08: BF8CCD7F
	v_mfma_f32_16x16x32_fp8_fp8 v[68:71], a[136:137], v[12:13], v[68:71]// 000000018C0C: D3F30044 0D121988
	v_mfma_f32_16x16x32_fp8_fp8 v[72:75], a[152:153], v[12:13], v[72:75]// 000000018C14: D3F30048 0D221998
	v_mfma_f32_16x16x32_fp8_fp8 v[68:71], a[138:139], v[14:15], v[68:71]// 000000018C1C: D3F30044 0D121D8A
	buffer_load_dwordx4 a[104:107], v229, s[16:19], 0 offen    // 000000018C24: E05C1000 808468E5
	v_mfma_f32_16x16x32_fp8_fp8 v[72:75], a[154:155], v[14:15], v[72:75]// 000000018C2C: D3F30048 0D221D9A
	s_waitcnt lgkmcnt(12)                                      // 000000018C34: BF8CCC7F
	v_mfma_f32_16x16x32_fp8_fp8 v[68:71], a[140:141], v[16:17], v[68:71]// 000000018C38: D3F30044 0D12218C
	v_mfma_f32_16x16x32_fp8_fp8 v[72:75], a[156:157], v[16:17], v[72:75]// 000000018C40: D3F30048 0D22219C
	v_mfma_f32_16x16x32_fp8_fp8 v[68:71], a[142:143], v[18:19], v[68:71]// 000000018C48: D3F30044 0D12258E
	buffer_load_dwordx4 a[108:111], v230, s[16:19], 0 offen    // 000000018C50: E05C1000 80846CE6
	v_mfma_f32_16x16x32_fp8_fp8 v[72:75], a[158:159], v[18:19], v[72:75]// 000000018C58: D3F30048 0D22259E
	s_waitcnt lgkmcnt(11)                                      // 000000018C60: BF8CCB7F
	v_mfma_f32_16x16x32_fp8_fp8 v[76:79], a[128:129], v[20:21], 0// 000000018C64: D3F3004C 0A022980
	v_mfma_f32_16x16x32_fp8_fp8 v[80:83], a[144:145], v[20:21], 0// 000000018C6C: D3F30050 0A022990
	v_mfma_f32_16x16x32_fp8_fp8 v[76:79], a[130:131], v[22:23], v[76:79]// 000000018C74: D3F3004C 0D322D82
	buffer_load_dwordx4 a[112:115], v227, s[16:19], 0 offen offset:1024// 000000018C7C: E05C1400 808470E3
	v_mfma_f32_16x16x32_fp8_fp8 v[80:83], a[146:147], v[22:23], v[80:83]// 000000018C84: D3F30050 0D422D92
	s_waitcnt lgkmcnt(10)                                      // 000000018C8C: BF8CCA7F
	v_mfma_f32_16x16x32_fp8_fp8 v[76:79], a[132:133], v[24:25], v[76:79]// 000000018C90: D3F3004C 0D323184
	v_mfma_f32_16x16x32_fp8_fp8 v[80:83], a[148:149], v[24:25], v[80:83]// 000000018C98: D3F30050 0D423194
	v_mfma_f32_16x16x32_fp8_fp8 v[76:79], a[134:135], v[26:27], v[76:79]// 000000018CA0: D3F3004C 0D323586
	buffer_load_dwordx4 a[116:119], v228, s[16:19], 0 offen offset:1024// 000000018CA8: E05C1400 808474E4
	v_mfma_f32_16x16x32_fp8_fp8 v[80:83], a[150:151], v[26:27], v[80:83]// 000000018CB0: D3F30050 0D423596
	s_waitcnt lgkmcnt(9)                                       // 000000018CB8: BF8CC97F
	v_mfma_f32_16x16x32_fp8_fp8 v[76:79], a[136:137], v[28:29], v[76:79]// 000000018CBC: D3F3004C 0D323988
	v_mfma_f32_16x16x32_fp8_fp8 v[80:83], a[152:153], v[28:29], v[80:83]// 000000018CC4: D3F30050 0D423998
	v_mfma_f32_16x16x32_fp8_fp8 v[76:79], a[138:139], v[30:31], v[76:79]// 000000018CCC: D3F3004C 0D323D8A
	buffer_load_dwordx4 a[120:123], v229, s[16:19], 0 offen offset:1024// 000000018CD4: E05C1400 808478E5
	v_mfma_f32_16x16x32_fp8_fp8 v[80:83], a[154:155], v[30:31], v[80:83]// 000000018CDC: D3F30050 0D423D9A
	s_waitcnt lgkmcnt(8)                                       // 000000018CE4: BF8CC87F
	v_mfma_f32_16x16x32_fp8_fp8 v[76:79], a[140:141], v[32:33], v[76:79]// 000000018CE8: D3F3004C 0D32418C
	v_mfma_f32_16x16x32_fp8_fp8 v[80:83], a[156:157], v[32:33], v[80:83]// 000000018CF0: D3F30050 0D42419C
	v_mfma_f32_16x16x32_fp8_fp8 v[76:79], a[142:143], v[34:35], v[76:79]// 000000018CF8: D3F3004C 0D32458E
	buffer_load_dwordx4 a[124:127], v230, s[16:19], 0 offen offset:1024// 000000018D00: E05C1400 80847CE6
	v_mfma_f32_16x16x32_fp8_fp8 v[80:83], a[158:159], v[34:35], v[80:83]// 000000018D08: D3F30050 0D42459E
	s_waitcnt lgkmcnt(7)                                       // 000000018D10: BF8CC77F
	v_mfma_f32_16x16x32_fp8_fp8 v[84:87], a[128:129], v[36:37], 0// 000000018D14: D3F30054 0A024980
	v_mfma_f32_16x16x32_fp8_fp8 v[88:91], a[144:145], v[36:37], 0// 000000018D1C: D3F30058 0A024990
	v_mfma_f32_16x16x32_fp8_fp8 v[84:87], a[130:131], v[38:39], v[84:87]// 000000018D24: D3F30054 0D524D82
	v_mfma_f32_16x16x32_fp8_fp8 v[88:91], a[146:147], v[38:39], v[88:91]// 000000018D2C: D3F30058 0D624D92
	s_waitcnt lgkmcnt(6)                                       // 000000018D34: BF8CC67F
	v_mfma_f32_16x16x32_fp8_fp8 v[84:87], a[132:133], v[40:41], v[84:87]// 000000018D38: D3F30054 0D525184
	v_mfma_f32_16x16x32_fp8_fp8 v[88:91], a[148:149], v[40:41], v[88:91]// 000000018D40: D3F30058 0D625194
	v_mfma_f32_16x16x32_fp8_fp8 v[84:87], a[134:135], v[42:43], v[84:87]// 000000018D48: D3F30054 0D525586
	v_mfma_f32_16x16x32_fp8_fp8 v[88:91], a[150:151], v[42:43], v[88:91]// 000000018D50: D3F30058 0D625596
	s_waitcnt lgkmcnt(5)                                       // 000000018D58: BF8CC57F
	v_mfma_f32_16x16x32_fp8_fp8 v[84:87], a[136:137], v[44:45], v[84:87]// 000000018D5C: D3F30054 0D525988
	v_mfma_f32_16x16x32_fp8_fp8 v[88:91], a[152:153], v[44:45], v[88:91]// 000000018D64: D3F30058 0D625998
	v_mfma_f32_16x16x32_fp8_fp8 v[84:87], a[138:139], v[46:47], v[84:87]// 000000018D6C: D3F30054 0D525D8A
	v_mfma_f32_16x16x32_fp8_fp8 v[88:91], a[154:155], v[46:47], v[88:91]// 000000018D74: D3F30058 0D625D9A
	s_waitcnt lgkmcnt(4)                                       // 000000018D7C: BF8CC47F
	v_mfma_f32_16x16x32_fp8_fp8 v[84:87], a[140:141], v[48:49], v[84:87]// 000000018D80: D3F30054 0D52618C
	v_mfma_f32_16x16x32_fp8_fp8 v[88:91], a[156:157], v[48:49], v[88:91]// 000000018D88: D3F30058 0D62619C
	v_mfma_f32_16x16x32_fp8_fp8 v[84:87], a[142:143], v[50:51], v[84:87]// 000000018D90: D3F30054 0D52658E
	v_mfma_f32_16x16x32_fp8_fp8 v[88:91], a[158:159], v[50:51], v[88:91]// 000000018D98: D3F30058 0D62659E
	s_waitcnt lgkmcnt(3)                                       // 000000018DA0: BF8CC37F
	v_mfma_f32_16x16x32_fp8_fp8 v[92:95], a[128:129], v[52:53], 0// 000000018DA4: D3F3005C 0A026980
	v_mfma_f32_16x16x32_fp8_fp8 v[96:99], a[144:145], v[52:53], 0// 000000018DAC: D3F30060 0A026990
	v_mfma_f32_16x16x32_fp8_fp8 v[92:95], a[130:131], v[54:55], v[92:95]// 000000018DB4: D3F3005C 0D726D82
	v_mfma_f32_16x16x32_fp8_fp8 v[96:99], a[146:147], v[54:55], v[96:99]// 000000018DBC: D3F30060 0D826D92
	s_waitcnt lgkmcnt(2)                                       // 000000018DC4: BF8CC27F
	v_mfma_f32_16x16x32_fp8_fp8 v[92:95], a[132:133], v[56:57], v[92:95]// 000000018DC8: D3F3005C 0D727184
	v_mfma_f32_16x16x32_fp8_fp8 v[96:99], a[148:149], v[56:57], v[96:99]// 000000018DD0: D3F30060 0D827194
	v_mfma_f32_16x16x32_fp8_fp8 v[92:95], a[134:135], v[58:59], v[92:95]// 000000018DD8: D3F3005C 0D727586
	v_mfma_f32_16x16x32_fp8_fp8 v[96:99], a[150:151], v[58:59], v[96:99]// 000000018DE0: D3F30060 0D827596
	s_waitcnt lgkmcnt(1)                                       // 000000018DE8: BF8CC17F
	v_mfma_f32_16x16x32_fp8_fp8 v[92:95], a[136:137], v[60:61], v[92:95]// 000000018DEC: D3F3005C 0D727988
	v_mfma_f32_16x16x32_fp8_fp8 v[96:99], a[152:153], v[60:61], v[96:99]// 000000018DF4: D3F30060 0D827998
	v_mfma_f32_16x16x32_fp8_fp8 v[92:95], a[138:139], v[62:63], v[92:95]// 000000018DFC: D3F3005C 0D727D8A
	v_mfma_f32_16x16x32_fp8_fp8 v[96:99], a[154:155], v[62:63], v[96:99]// 000000018E04: D3F30060 0D827D9A
	s_waitcnt lgkmcnt(0)                                       // 000000018E0C: BF8CC07F
	v_mfma_f32_16x16x32_fp8_fp8 v[92:95], a[140:141], v[64:65], v[92:95]// 000000018E10: D3F3005C 0D72818C
	v_mfma_f32_16x16x32_fp8_fp8 v[96:99], a[156:157], v[64:65], v[96:99]// 000000018E18: D3F30060 0D82819C
	v_mfma_f32_16x16x32_fp8_fp8 v[92:95], a[142:143], v[66:67], v[92:95]// 000000018E20: D3F3005C 0D72858E
	v_mfma_f32_16x16x32_fp8_fp8 v[96:99], a[158:159], v[66:67], v[96:99]// 000000018E28: D3F30060 0D82859E
	s_addk_i32 s64, 0x100                                      // 000000018E30: B7400100
	s_branch label_338E                                        // 000000018E34: BF82DA00

0000000000018e38 <label_598E>:
	v_pk_mul_f32 v[100:101], v[160:161], v[100:101]            // 000000018E38: D3B14064 1802C9A0
	v_pk_mul_f32 v[102:103], v[160:161], v[102:103]            // 000000018E40: D3B14066 1802CDA0
	v_pk_mul_f32 v[104:105], v[160:161], v[104:105]            // 000000018E48: D3B14068 1802D1A0
	v_pk_mul_f32 v[106:107], v[160:161], v[106:107]            // 000000018E50: D3B1406A 1802D5A0
	v_pk_mul_f32 v[108:109], v[162:163], v[108:109]            // 000000018E58: D3B1406C 1802D9A2
	v_pk_mul_f32 v[110:111], v[162:163], v[110:111]            // 000000018E60: D3B1406E 1802DDA2
	v_pk_mul_f32 v[112:113], v[162:163], v[112:113]            // 000000018E68: D3B14070 1802E1A2
	v_pk_mul_f32 v[114:115], v[162:163], v[114:115]            // 000000018E70: D3B14072 1802E5A2
	v_pk_mul_f32 v[116:117], v[164:165], v[116:117]            // 000000018E78: D3B14074 1802E9A4
	v_pk_mul_f32 v[118:119], v[164:165], v[118:119]            // 000000018E80: D3B14076 1802EDA4
	v_pk_mul_f32 v[120:121], v[164:165], v[120:121]            // 000000018E88: D3B14078 1802F1A4
	v_pk_mul_f32 v[122:123], v[164:165], v[122:123]            // 000000018E90: D3B1407A 1802F5A4
	v_pk_mul_f32 v[124:125], v[166:167], v[124:125]            // 000000018E98: D3B1407C 1802F9A6
	v_pk_mul_f32 v[126:127], v[166:167], v[126:127]            // 000000018EA0: D3B1407E 1802FDA6
	v_pk_mul_f32 v[128:129], v[166:167], v[128:129]            // 000000018EA8: D3B14080 180301A6
	v_pk_mul_f32 v[130:131], v[166:167], v[130:131]            // 000000018EB0: D3B14082 180305A6
	ds_bpermute_b32 v180, v200, v168                           // 000000018EB8: D87E0000 B400A8C8
	ds_bpermute_b32 v181, v201, v168                           // 000000018EC0: D87E0000 B500A8C9
	ds_bpermute_b32 v182, v202, v168                           // 000000018EC8: D87E0000 B600A8CA
	ds_bpermute_b32 v183, v200, v170                           // 000000018ED0: D87E0000 B700AAC8
	ds_bpermute_b32 v184, v201, v170                           // 000000018ED8: D87E0000 B800AAC9
	ds_bpermute_b32 v185, v202, v170                           // 000000018EE0: D87E0000 B900AACA
	ds_bpermute_b32 v186, v200, v172                           // 000000018EE8: D87E0000 BA00ACC8
	ds_bpermute_b32 v187, v201, v172                           // 000000018EF0: D87E0000 BB00ACC9
	ds_bpermute_b32 v188, v202, v172                           // 000000018EF8: D87E0000 BC00ACCA
	ds_bpermute_b32 v189, v200, v174                           // 000000018F00: D87E0000 BD00AEC8
	ds_bpermute_b32 v190, v201, v174                           // 000000018F08: D87E0000 BE00AEC9
	ds_bpermute_b32 v191, v202, v174                           // 000000018F10: D87E0000 BF00AECA
	s_waitcnt lgkmcnt(0)                                       // 000000018F18: BF8CC07F
	v_add_f32_e32 v168, v180, v168                             // 000000018F1C: 035151B4
	v_add_f32_e32 v168, v181, v168                             // 000000018F20: 035151B5
	v_add_f32_e32 v168, v182, v168                             // 000000018F24: 035151B6
	v_add_f32_e32 v169, v183, v170                             // 000000018F28: 035355B7
	v_add_f32_e32 v169, v184, v169                             // 000000018F2C: 035353B8
	v_add_f32_e32 v169, v185, v169                             // 000000018F30: 035353B9
	v_add_f32_e32 v170, v186, v172                             // 000000018F34: 035559BA
	v_add_f32_e32 v170, v187, v170                             // 000000018F38: 035555BB
	v_add_f32_e32 v170, v188, v170                             // 000000018F3C: 035555BC
	v_add_f32_e32 v171, v189, v174                             // 000000018F40: 03575DBD
	v_add_f32_e32 v171, v190, v171                             // 000000018F44: 035757BE
	v_add_f32_e32 v171, v191, v171                             // 000000018F48: 035757BF
	ds_write_b128 v247, v[168:171]                             // 000000018F4C: D9BE0000 0000A8F7
	v_pk_mul_f32 v[68:69], v[144:145], v[68:69]                // 000000018F54: D3B14044 18028990
	v_pk_mul_f32 v[70:71], v[144:145], v[70:71]                // 000000018F5C: D3B14046 18028D90
	v_pk_mul_f32 v[72:73], v[144:145], v[72:73]                // 000000018F64: D3B14048 18029190
	v_pk_mul_f32 v[74:75], v[144:145], v[74:75]                // 000000018F6C: D3B1404A 18029590
	v_pk_mul_f32 v[76:77], v[146:147], v[76:77]                // 000000018F74: D3B1404C 18029992
	v_pk_mul_f32 v[78:79], v[146:147], v[78:79]                // 000000018F7C: D3B1404E 18029D92
	v_pk_mul_f32 v[80:81], v[146:147], v[80:81]                // 000000018F84: D3B14050 1802A192
	v_pk_mul_f32 v[82:83], v[146:147], v[82:83]                // 000000018F8C: D3B14052 1802A592
	v_pk_mul_f32 v[84:85], v[148:149], v[84:85]                // 000000018F94: D3B14054 1802A994
	v_pk_mul_f32 v[86:87], v[148:149], v[86:87]                // 000000018F9C: D3B14056 1802AD94
	v_pk_mul_f32 v[88:89], v[148:149], v[88:89]                // 000000018FA4: D3B14058 1802B194
	v_pk_mul_f32 v[90:91], v[148:149], v[90:91]                // 000000018FAC: D3B1405A 1802B594
	v_pk_mul_f32 v[92:93], v[150:151], v[92:93]                // 000000018FB4: D3B1405C 1802B996
	v_pk_mul_f32 v[94:95], v[150:151], v[94:95]                // 000000018FBC: D3B1405E 1802BD96
	v_pk_mul_f32 v[96:97], v[150:151], v[96:97]                // 000000018FC4: D3B14060 1802C196
	v_pk_mul_f32 v[98:99], v[150:151], v[98:99]                // 000000018FCC: D3B14062 1802C596
	s_waitcnt lgkmcnt(0)                                       // 000000018FD4: BF8CC07F
	s_barrier                                                  // 000000018FD8: BF8A0000
	ds_read_b128 v[180:183], v248                              // 000000018FDC: D9FE0000 B40000F8
	ds_read_b128 v[184:187], v248 offset:256                   // 000000018FE4: D9FE0100 B80000F8
	ds_read_b128 v[188:191], v248 offset:512                   // 000000018FEC: D9FE0200 BC0000F8
	ds_read_b128 v[192:195], v248 offset:768                   // 000000018FF4: D9FE0300 C00000F8
	v_pk_add_f32 v[100:101], v[100:101], v[68:69]              // 000000018FFC: D3B24064 18028964
	v_pk_add_f32 v[102:103], v[102:103], v[70:71]              // 000000019004: D3B24066 18028D66
	v_pk_add_f32 v[104:105], v[104:105], v[72:73]              // 00000001900C: D3B24068 18029168
	v_pk_add_f32 v[106:107], v[106:107], v[74:75]              // 000000019014: D3B2406A 1802956A
	v_pk_add_f32 v[108:109], v[108:109], v[76:77]              // 00000001901C: D3B2406C 1802996C
	v_pk_add_f32 v[110:111], v[110:111], v[78:79]              // 000000019024: D3B2406E 18029D6E
	v_pk_add_f32 v[112:113], v[112:113], v[80:81]              // 00000001902C: D3B24070 1802A170
	v_pk_add_f32 v[114:115], v[114:115], v[82:83]              // 000000019034: D3B24072 1802A572
	v_pk_add_f32 v[116:117], v[116:117], v[84:85]              // 00000001903C: D3B24074 1802A974
	v_pk_add_f32 v[118:119], v[118:119], v[86:87]              // 000000019044: D3B24076 1802AD76
	v_pk_add_f32 v[120:121], v[120:121], v[88:89]              // 00000001904C: D3B24078 1802B178
	v_pk_add_f32 v[122:123], v[122:123], v[90:91]              // 000000019054: D3B2407A 1802B57A
	v_pk_add_f32 v[124:125], v[124:125], v[92:93]              // 00000001905C: D3B2407C 1802B97C
	v_pk_add_f32 v[126:127], v[126:127], v[94:95]              // 000000019064: D3B2407E 1802BD7E
	v_pk_add_f32 v[128:129], v[128:129], v[96:97]              // 00000001906C: D3B24080 1802C180
	v_pk_add_f32 v[130:131], v[130:131], v[98:99]              // 000000019074: D3B24082 1802C582
	s_waitcnt lgkmcnt(0)                                       // 00000001907C: BF8CC07F
	v_mov_b64_e32 v[168:169], 0                                // 000000019080: 7F507080
	v_mov_b64_e32 v[170:171], 0                                // 000000019084: 7F547080
	v_pk_add_f32 v[168:169], v[180:181], v[168:169]            // 000000019088: D3B240A8 180351B4
	v_pk_add_f32 v[170:171], v[182:183], v[170:171]            // 000000019090: D3B240AA 180355B6
	v_pk_add_f32 v[168:169], v[184:185], v[168:169]            // 000000019098: D3B240A8 180351B8
	v_pk_add_f32 v[170:171], v[186:187], v[170:171]            // 0000000190A0: D3B240AA 180355BA
	v_pk_add_f32 v[168:169], v[188:189], v[168:169]            // 0000000190A8: D3B240A8 180351BC
	v_pk_add_f32 v[170:171], v[190:191], v[170:171]            // 0000000190B0: D3B240AA 180355BE
	v_pk_add_f32 v[168:169], v[192:193], v[168:169]            // 0000000190B8: D3B240A8 180351C0
	v_pk_add_f32 v[170:171], v[194:195], v[170:171]            // 0000000190C0: D3B240AA 180355C2
	v_rcp_f32_e32 v180, v168                                   // 0000000190C8: 7F6845A8
	v_cmp_eq_u32_e64 s[54:55], 0, v168                         // 0000000190CC: D0CA0036 00035080
	s_nop 0                                                    // 0000000190D4: BF800000
	v_cndmask_b32_e64 v180, v180, 0, s[54:55]                  // 0000000190D8: D10000B4 00D901B4
	v_rcp_f32_e32 v181, v169                                   // 0000000190E0: 7F6A45A9
	v_cmp_eq_u32_e64 s[54:55], 0, v169                         // 0000000190E4: D0CA0036 00035280
	s_nop 0                                                    // 0000000190EC: BF800000
	v_cndmask_b32_e64 v181, v181, 0, s[54:55]                  // 0000000190F0: D10000B5 00D901B5
	v_rcp_f32_e32 v182, v170                                   // 0000000190F8: 7F6C45AA
	v_cmp_eq_u32_e64 s[54:55], 0, v170                         // 0000000190FC: D0CA0036 00035480
	s_nop 0                                                    // 000000019104: BF800000
	v_cndmask_b32_e64 v182, v182, 0, s[54:55]                  // 000000019108: D10000B6 00D901B6
	v_rcp_f32_e32 v183, v171                                   // 000000019110: 7F6E45AB
	v_cmp_eq_u32_e64 s[54:55], 0, v171                         // 000000019114: D0CA0036 00035680
	s_nop 0                                                    // 00000001911C: BF800000
	v_cndmask_b32_e64 v183, v183, 0, s[54:55]                  // 000000019120: D10000B7 00D901B7
	v_mul_f32_e32 v100, v180, v100                             // 000000019128: 0AC8C9B4
	v_mul_f32_e32 v101, v180, v101                             // 00000001912C: 0ACACBB4
	v_mul_f32_e32 v102, v180, v102                             // 000000019130: 0ACCCDB4
	v_mul_f32_e32 v103, v180, v103                             // 000000019134: 0ACECFB4
	v_mul_f32_e32 v104, v180, v104                             // 000000019138: 0AD0D1B4
	v_mul_f32_e32 v105, v180, v105                             // 00000001913C: 0AD2D3B4
	v_mul_f32_e32 v106, v180, v106                             // 000000019140: 0AD4D5B4
	v_mul_f32_e32 v107, v180, v107                             // 000000019144: 0AD6D7B4
	v_mul_f32_e32 v108, v181, v108                             // 000000019148: 0AD8D9B5
	v_mul_f32_e32 v109, v181, v109                             // 00000001914C: 0ADADBB5
	v_mul_f32_e32 v110, v181, v110                             // 000000019150: 0ADCDDB5
	v_mul_f32_e32 v111, v181, v111                             // 000000019154: 0ADEDFB5
	v_mul_f32_e32 v112, v181, v112                             // 000000019158: 0AE0E1B5
	v_mul_f32_e32 v113, v181, v113                             // 00000001915C: 0AE2E3B5
	v_mul_f32_e32 v114, v181, v114                             // 000000019160: 0AE4E5B5
	v_mul_f32_e32 v115, v181, v115                             // 000000019164: 0AE6E7B5
	v_mul_f32_e32 v116, v182, v116                             // 000000019168: 0AE8E9B6
	v_mul_f32_e32 v117, v182, v117                             // 00000001916C: 0AEAEBB6
	v_mul_f32_e32 v118, v182, v118                             // 000000019170: 0AECEDB6
	v_mul_f32_e32 v119, v182, v119                             // 000000019174: 0AEEEFB6
	v_mul_f32_e32 v120, v182, v120                             // 000000019178: 0AF0F1B6
	v_mul_f32_e32 v121, v182, v121                             // 00000001917C: 0AF2F3B6
	v_mul_f32_e32 v122, v182, v122                             // 000000019180: 0AF4F5B6
	v_mul_f32_e32 v123, v182, v123                             // 000000019184: 0AF6F7B6
	v_mul_f32_e32 v124, v183, v124                             // 000000019188: 0AF8F9B7
	v_mul_f32_e32 v125, v183, v125                             // 00000001918C: 0AFAFBB7
	v_mul_f32_e32 v126, v183, v126                             // 000000019190: 0AFCFDB7
	v_mul_f32_e32 v127, v183, v127                             // 000000019194: 0AFEFFB7
	v_mul_f32_e32 v128, v183, v128                             // 000000019198: 0B0101B7
	v_mul_f32_e32 v129, v183, v129                             // 00000001919C: 0B0303B7
	v_mul_f32_e32 v130, v183, v130                             // 0000000191A0: 0B0505B7
	v_mul_f32_e32 v131, v183, v131                             // 0000000191A4: 0B0707B7
	s_cmp_eq_i32 s73, -1                                       // 0000000191A8: BF00C149
	s_cbranch_scc0 label_5B73                                  // 0000000191AC: BF840107
	v_cmp_u_f32_e64 s[98:99], v100, v100                       // 0000000191B0: D0480062 0002C964
	v_add3_u32 v207, v100, v210, 1                             // 0000000191B8: D1FF00CF 0207A564
	v_cndmask_b32_e64 v196, v207, v209, s[98:99]               // 0000000191C0: D10000C4 018BA3CF
	v_cmp_u_f32_e64 s[98:99], v101, v101                       // 0000000191C8: D0480062 0002CB65
	v_add3_u32 v207, v101, v210, 1                             // 0000000191D0: D1FF00CF 0207A565
	v_cndmask_b32_e64 v197, v207, v209, s[98:99]               // 0000000191D8: D10000C5 018BA3CF
	v_perm_b32 v100, v197, v196, s56                           // 0000000191E0: D1ED0064 00E389C5
	v_cmp_u_f32_e64 s[98:99], v102, v102                       // 0000000191E8: D0480062 0002CD66
	v_add3_u32 v207, v102, v210, 1                             // 0000000191F0: D1FF00CF 0207A566
	v_cndmask_b32_e64 v196, v207, v209, s[98:99]               // 0000000191F8: D10000C4 018BA3CF
	v_cmp_u_f32_e64 s[98:99], v103, v103                       // 000000019200: D0480062 0002CF67
	v_add3_u32 v207, v103, v210, 1                             // 000000019208: D1FF00CF 0207A567
	v_cndmask_b32_e64 v197, v207, v209, s[98:99]               // 000000019210: D10000C5 018BA3CF
	v_perm_b32 v101, v197, v196, s56                           // 000000019218: D1ED0065 00E389C5
	v_cmp_u_f32_e64 s[98:99], v104, v104                       // 000000019220: D0480062 0002D168
	v_add3_u32 v207, v104, v210, 1                             // 000000019228: D1FF00CF 0207A568
	v_cndmask_b32_e64 v196, v207, v209, s[98:99]               // 000000019230: D10000C4 018BA3CF
	v_cmp_u_f32_e64 s[98:99], v105, v105                       // 000000019238: D0480062 0002D369
	v_add3_u32 v207, v105, v210, 1                             // 000000019240: D1FF00CF 0207A569
	v_cndmask_b32_e64 v197, v207, v209, s[98:99]               // 000000019248: D10000C5 018BA3CF
	v_perm_b32 v102, v197, v196, s56                           // 000000019250: D1ED0066 00E389C5
	v_cmp_u_f32_e64 s[98:99], v106, v106                       // 000000019258: D0480062 0002D56A
	v_add3_u32 v207, v106, v210, 1                             // 000000019260: D1FF00CF 0207A56A
	v_cndmask_b32_e64 v196, v207, v209, s[98:99]               // 000000019268: D10000C4 018BA3CF
	v_cmp_u_f32_e64 s[98:99], v107, v107                       // 000000019270: D0480062 0002D76B
	v_add3_u32 v207, v107, v210, 1                             // 000000019278: D1FF00CF 0207A56B
	v_cndmask_b32_e64 v197, v207, v209, s[98:99]               // 000000019280: D10000C5 018BA3CF
	v_perm_b32 v103, v197, v196, s56                           // 000000019288: D1ED0067 00E389C5
	v_cmp_u_f32_e64 s[98:99], v108, v108                       // 000000019290: D0480062 0002D96C
	v_add3_u32 v207, v108, v210, 1                             // 000000019298: D1FF00CF 0207A56C
	v_cndmask_b32_e64 v196, v207, v209, s[98:99]               // 0000000192A0: D10000C4 018BA3CF
	v_cmp_u_f32_e64 s[98:99], v109, v109                       // 0000000192A8: D0480062 0002DB6D
	v_add3_u32 v207, v109, v210, 1                             // 0000000192B0: D1FF00CF 0207A56D
	v_cndmask_b32_e64 v197, v207, v209, s[98:99]               // 0000000192B8: D10000C5 018BA3CF
	v_perm_b32 v104, v197, v196, s56                           // 0000000192C0: D1ED0068 00E389C5
	v_cmp_u_f32_e64 s[98:99], v110, v110                       // 0000000192C8: D0480062 0002DD6E
	v_add3_u32 v207, v110, v210, 1                             // 0000000192D0: D1FF00CF 0207A56E
	v_cndmask_b32_e64 v196, v207, v209, s[98:99]               // 0000000192D8: D10000C4 018BA3CF
	v_cmp_u_f32_e64 s[98:99], v111, v111                       // 0000000192E0: D0480062 0002DF6F
	v_add3_u32 v207, v111, v210, 1                             // 0000000192E8: D1FF00CF 0207A56F
	v_cndmask_b32_e64 v197, v207, v209, s[98:99]               // 0000000192F0: D10000C5 018BA3CF
	v_perm_b32 v105, v197, v196, s56                           // 0000000192F8: D1ED0069 00E389C5
	v_cmp_u_f32_e64 s[98:99], v112, v112                       // 000000019300: D0480062 0002E170
	v_add3_u32 v207, v112, v210, 1                             // 000000019308: D1FF00CF 0207A570
	v_cndmask_b32_e64 v196, v207, v209, s[98:99]               // 000000019310: D10000C4 018BA3CF
	v_cmp_u_f32_e64 s[98:99], v113, v113                       // 000000019318: D0480062 0002E371
	v_add3_u32 v207, v113, v210, 1                             // 000000019320: D1FF00CF 0207A571
	v_cndmask_b32_e64 v197, v207, v209, s[98:99]               // 000000019328: D10000C5 018BA3CF
	v_perm_b32 v106, v197, v196, s56                           // 000000019330: D1ED006A 00E389C5
	v_cmp_u_f32_e64 s[98:99], v114, v114                       // 000000019338: D0480062 0002E572
	v_add3_u32 v207, v114, v210, 1                             // 000000019340: D1FF00CF 0207A572
	v_cndmask_b32_e64 v196, v207, v209, s[98:99]               // 000000019348: D10000C4 018BA3CF
	v_cmp_u_f32_e64 s[98:99], v115, v115                       // 000000019350: D0480062 0002E773
	v_add3_u32 v207, v115, v210, 1                             // 000000019358: D1FF00CF 0207A573
	v_cndmask_b32_e64 v197, v207, v209, s[98:99]               // 000000019360: D10000C5 018BA3CF
	v_perm_b32 v107, v197, v196, s56                           // 000000019368: D1ED006B 00E389C5
	v_cmp_u_f32_e64 s[98:99], v116, v116                       // 000000019370: D0480062 0002E974
	v_add3_u32 v207, v116, v210, 1                             // 000000019378: D1FF00CF 0207A574
	v_cndmask_b32_e64 v196, v207, v209, s[98:99]               // 000000019380: D10000C4 018BA3CF
	v_cmp_u_f32_e64 s[98:99], v117, v117                       // 000000019388: D0480062 0002EB75
	v_add3_u32 v207, v117, v210, 1                             // 000000019390: D1FF00CF 0207A575
	v_cndmask_b32_e64 v197, v207, v209, s[98:99]               // 000000019398: D10000C5 018BA3CF
	v_perm_b32 v108, v197, v196, s56                           // 0000000193A0: D1ED006C 00E389C5
	v_cmp_u_f32_e64 s[98:99], v118, v118                       // 0000000193A8: D0480062 0002ED76
	v_add3_u32 v207, v118, v210, 1                             // 0000000193B0: D1FF00CF 0207A576
	v_cndmask_b32_e64 v196, v207, v209, s[98:99]               // 0000000193B8: D10000C4 018BA3CF
	v_cmp_u_f32_e64 s[98:99], v119, v119                       // 0000000193C0: D0480062 0002EF77
	v_add3_u32 v207, v119, v210, 1                             // 0000000193C8: D1FF00CF 0207A577
	v_cndmask_b32_e64 v197, v207, v209, s[98:99]               // 0000000193D0: D10000C5 018BA3CF
	v_perm_b32 v109, v197, v196, s56                           // 0000000193D8: D1ED006D 00E389C5
	v_cmp_u_f32_e64 s[98:99], v120, v120                       // 0000000193E0: D0480062 0002F178
	v_add3_u32 v207, v120, v210, 1                             // 0000000193E8: D1FF00CF 0207A578
	v_cndmask_b32_e64 v196, v207, v209, s[98:99]               // 0000000193F0: D10000C4 018BA3CF
	v_cmp_u_f32_e64 s[98:99], v121, v121                       // 0000000193F8: D0480062 0002F379
	v_add3_u32 v207, v121, v210, 1                             // 000000019400: D1FF00CF 0207A579
	v_cndmask_b32_e64 v197, v207, v209, s[98:99]               // 000000019408: D10000C5 018BA3CF
	v_perm_b32 v110, v197, v196, s56                           // 000000019410: D1ED006E 00E389C5
	v_cmp_u_f32_e64 s[98:99], v122, v122                       // 000000019418: D0480062 0002F57A
	v_add3_u32 v207, v122, v210, 1                             // 000000019420: D1FF00CF 0207A57A
	v_cndmask_b32_e64 v196, v207, v209, s[98:99]               // 000000019428: D10000C4 018BA3CF
	v_cmp_u_f32_e64 s[98:99], v123, v123                       // 000000019430: D0480062 0002F77B
	v_add3_u32 v207, v123, v210, 1                             // 000000019438: D1FF00CF 0207A57B
	v_cndmask_b32_e64 v197, v207, v209, s[98:99]               // 000000019440: D10000C5 018BA3CF
	v_perm_b32 v111, v197, v196, s56                           // 000000019448: D1ED006F 00E389C5
	v_cmp_u_f32_e64 s[98:99], v124, v124                       // 000000019450: D0480062 0002F97C
	v_add3_u32 v207, v124, v210, 1                             // 000000019458: D1FF00CF 0207A57C
	v_cndmask_b32_e64 v196, v207, v209, s[98:99]               // 000000019460: D10000C4 018BA3CF
	v_cmp_u_f32_e64 s[98:99], v125, v125                       // 000000019468: D0480062 0002FB7D
	v_add3_u32 v207, v125, v210, 1                             // 000000019470: D1FF00CF 0207A57D
	v_cndmask_b32_e64 v197, v207, v209, s[98:99]               // 000000019478: D10000C5 018BA3CF
	v_perm_b32 v112, v197, v196, s56                           // 000000019480: D1ED0070 00E389C5
	v_cmp_u_f32_e64 s[98:99], v126, v126                       // 000000019488: D0480062 0002FD7E
	v_add3_u32 v207, v126, v210, 1                             // 000000019490: D1FF00CF 0207A57E
	v_cndmask_b32_e64 v196, v207, v209, s[98:99]               // 000000019498: D10000C4 018BA3CF
	v_cmp_u_f32_e64 s[98:99], v127, v127                       // 0000000194A0: D0480062 0002FF7F
	v_add3_u32 v207, v127, v210, 1                             // 0000000194A8: D1FF00CF 0207A57F
	v_cndmask_b32_e64 v197, v207, v209, s[98:99]               // 0000000194B0: D10000C5 018BA3CF
	v_perm_b32 v113, v197, v196, s56                           // 0000000194B8: D1ED0071 00E389C5
	v_cmp_u_f32_e64 s[98:99], v128, v128                       // 0000000194C0: D0480062 00030180
	v_add3_u32 v207, v128, v210, 1                             // 0000000194C8: D1FF00CF 0207A580
	v_cndmask_b32_e64 v196, v207, v209, s[98:99]               // 0000000194D0: D10000C4 018BA3CF
	v_cmp_u_f32_e64 s[98:99], v129, v129                       // 0000000194D8: D0480062 00030381
	v_add3_u32 v207, v129, v210, 1                             // 0000000194E0: D1FF00CF 0207A581
	v_cndmask_b32_e64 v197, v207, v209, s[98:99]               // 0000000194E8: D10000C5 018BA3CF
	v_perm_b32 v114, v197, v196, s56                           // 0000000194F0: D1ED0072 00E389C5
	v_cmp_u_f32_e64 s[98:99], v130, v130                       // 0000000194F8: D0480062 00030582
	v_add3_u32 v207, v130, v210, 1                             // 000000019500: D1FF00CF 0207A582
	v_cndmask_b32_e64 v196, v207, v209, s[98:99]               // 000000019508: D10000C4 018BA3CF
	v_cmp_u_f32_e64 s[98:99], v131, v131                       // 000000019510: D0480062 00030783
	v_add3_u32 v207, v131, v210, 1                             // 000000019518: D1FF00CF 0207A583
	v_cndmask_b32_e64 v197, v207, v209, s[98:99]               // 000000019520: D10000C5 018BA3CF
	v_perm_b32 v115, v197, v196, s56                           // 000000019528: D1ED0073 00E389C5
	ds_write_b64 v245, v[100:101] offset:8192                  // 000000019530: D89A2000 000064F5
	ds_write_b64 v245, v[102:103] offset:10496                 // 000000019538: D89A2900 000066F5
	ds_write_b64 v245, v[104:105] offset:12800                 // 000000019540: D89A3200 000068F5
	ds_write_b64 v245, v[106:107] offset:15104                 // 000000019548: D89A3B00 00006AF5
	ds_write_b64 v245, v[108:109] offset:17408                 // 000000019550: D89A4400 00006CF5
	ds_write_b64 v245, v[110:111] offset:19712                 // 000000019558: D89A4D00 00006EF5
	ds_write_b64 v245, v[112:113] offset:22016                 // 000000019560: D89A5600 000070F5
	ds_write_b64 v245, v[114:115] offset:24320                 // 000000019568: D89A5F00 000072F5
	s_waitcnt lgkmcnt(0)                                       // 000000019570: BF8CC07F
	s_barrier                                                  // 000000019574: BF8A0000
	ds_read_b128 v[100:103], v246 offset:8192                  // 000000019578: D9FE2000 640000F6
	ds_read_b128 v[104:107], v246 offset:12800                 // 000000019580: D9FE3200 680000F6
	ds_read_b128 v[108:111], v246 offset:17408                 // 000000019588: D9FE4400 6C0000F6
	ds_read_b128 v[112:115], v246 offset:22016                 // 000000019590: D9FE5600 700000F6
	s_waitcnt lgkmcnt(3)                                       // 000000019598: BF8CC37F
	buffer_store_dwordx4 v[100:103], v221, s[4:7], 0 offen     // 00000001959C: E07C1000 800164DD
	s_waitcnt lgkmcnt(2)                                       // 0000000195A4: BF8CC27F
	buffer_store_dwordx4 v[104:107], v222, s[4:7], 0 offen     // 0000000195A8: E07C1000 800168DE
	s_waitcnt lgkmcnt(1)                                       // 0000000195B0: BF8CC17F
	buffer_store_dwordx4 v[108:111], v223, s[4:7], 0 offen     // 0000000195B4: E07C1000 80016CDF
	s_waitcnt lgkmcnt(0)                                       // 0000000195BC: BF8CC07F
	buffer_store_dwordx4 v[112:115], v224, s[4:7], 0 offen     // 0000000195C0: E07C1000 800170E0
	s_branch label_5BAD                                        // 0000000195C8: BF82003A

00000000000195cc <label_5B73>:
	v_rcp_f32_e32 v199, 0x3fb8aa3b                             // 0000000195CC: 7F8E44FF 3FB8AA3B
	v_log_f32_e32 v196, v168                                   // 0000000195D4: 7F8843A8
	v_mul_f32_e64 v197, v152, s46                              // 0000000195D8: D10500C5 00005D98
	v_add_f32_e32 v203, v196, v197                             // 0000000195E0: 03978BC4
	v_mul_f32_e32 v203, v203, v199                             // 0000000195E4: 0B978FCB
	buffer_store_dword v203, v233, s[32:35], 0 offen           // 0000000195E8: E0701000 8008CBE9
	v_log_f32_e32 v196, v169                                   // 0000000195F0: 7F8843A9
	v_mul_f32_e64 v197, v153, s46                              // 0000000195F4: D10500C5 00005D99
	v_add_f32_e32 v204, v196, v197                             // 0000000195FC: 03998BC4
	v_mul_f32_e32 v204, v204, v199                             // 000000019600: 0B998FCC
	buffer_store_dword v204, v234, s[32:35], 0 offen           // 000000019604: E0701000 8008CCEA
	v_log_f32_e32 v196, v170                                   // 00000001960C: 7F8843AA
	v_mul_f32_e64 v197, v154, s46                              // 000000019610: D10500C5 00005D9A
	v_add_f32_e32 v205, v196, v197                             // 000000019618: 039B8BC4
	v_mul_f32_e32 v205, v205, v199                             // 00000001961C: 0B9B8FCD
	buffer_store_dword v205, v235, s[32:35], 0 offen           // 000000019620: E0701000 8008CDEB
	v_log_f32_e32 v196, v171                                   // 000000019628: 7F8843AB
	v_mul_f32_e64 v197, v155, s46                              // 00000001962C: D10500C5 00005D9B
	v_add_f32_e32 v206, v196, v197                             // 000000019634: 039D8BC4
	v_mul_f32_e32 v206, v206, v199                             // 000000019638: 0B9D8FCE
	buffer_store_dword v206, v236, s[32:35], 0 offen           // 00000001963C: E0701000 8008CEEC
	v_add_u32_e32 v196, 0, v237                                // 000000019644: 6989DA80
	buffer_store_dwordx4 v[100:103], v196, s[28:31], 0 offen   // 000000019648: E07C1000 800764C4
	v_add_u32_e32 v196, 0x100, v237                            // 000000019650: 6989DAFF 00000100
	buffer_store_dwordx4 v[104:107], v196, s[28:31], 0 offen   // 000000019658: E07C1000 800768C4
	v_add_u32_e32 v196, 0, v238                                // 000000019660: 6989DC80
	buffer_store_dwordx4 v[108:111], v196, s[28:31], 0 offen   // 000000019664: E07C1000 80076CC4
	v_add_u32_e32 v196, 0x100, v238                            // 00000001966C: 6989DCFF 00000100
	buffer_store_dwordx4 v[112:115], v196, s[28:31], 0 offen   // 000000019674: E07C1000 800770C4
	v_add_u32_e32 v196, 0, v239                                // 00000001967C: 6989DE80
	buffer_store_dwordx4 v[116:119], v196, s[28:31], 0 offen   // 000000019680: E07C1000 800774C4
	v_add_u32_e32 v196, 0x100, v239                            // 000000019688: 6989DEFF 00000100
	buffer_store_dwordx4 v[120:123], v196, s[28:31], 0 offen   // 000000019690: E07C1000 800778C4
	v_add_u32_e32 v196, 0, v240                                // 000000019698: 6989E080
	buffer_store_dwordx4 v[124:127], v196, s[28:31], 0 offen   // 00000001969C: E07C1000 80077CC4
	v_add_u32_e32 v196, 0x100, v240                            // 0000000196A4: 6989E0FF 00000100
	buffer_store_dwordx4 v[128:131], v196, s[28:31], 0 offen   // 0000000196AC: E07C1000 800780C4

00000000000196b4 <label_5BAD>:
	s_addk_i32 s80, 0x1                                        // 0000000196B4: B7500001
	s_branch label_025F                                        // 0000000196B8: BF82A6B0

00000000000196bc <label_5BAF>:
	s_waitcnt vmcnt(0) expcnt(0) lgkmcnt(0)                    // 0000000196BC: BF8C0000
	s_endpgm                                                   // 0000000196C0: BF810000
